;; amdgpu-corpus repo=ROCm/rocFFT kind=compiled arch=gfx906 opt=O3
	.text
	.amdgcn_target "amdgcn-amd-amdhsa--gfx906"
	.amdhsa_code_object_version 6
	.protected	bluestein_single_fwd_len2250_dim1_sp_op_CI_CI ; -- Begin function bluestein_single_fwd_len2250_dim1_sp_op_CI_CI
	.globl	bluestein_single_fwd_len2250_dim1_sp_op_CI_CI
	.p2align	8
	.type	bluestein_single_fwd_len2250_dim1_sp_op_CI_CI,@function
bluestein_single_fwd_len2250_dim1_sp_op_CI_CI: ; @bluestein_single_fwd_len2250_dim1_sp_op_CI_CI
; %bb.0:
	s_load_dwordx4 s[12:15], s[4:5], 0x28
	s_mov_b64 s[22:23], s[2:3]
	v_mul_u32_u24_e32 v1, 0x2d9, v0
	s_mov_b64 s[20:21], s[0:1]
	v_add_u32_sdwa v4, s6, v1 dst_sel:DWORD dst_unused:UNUSED_PAD src0_sel:DWORD src1_sel:WORD_1
	v_mov_b32_e32 v5, 0
	s_add_u32 s20, s20, s7
	s_waitcnt lgkmcnt(0)
	v_cmp_gt_u64_e32 vcc, s[12:13], v[4:5]
	s_addc_u32 s21, s21, 0
	s_and_saveexec_b64 s[0:1], vcc
	s_cbranch_execz .LBB0_31
; %bb.1:
	s_load_dwordx4 s[8:11], s[4:5], 0x18
	s_load_dwordx2 s[18:19], s[4:5], 0x0
	s_movk_i32 s6, 0x5a
	v_mul_lo_u16_sdwa v1, v1, s6 dst_sel:DWORD dst_unused:UNUSED_PAD src0_sel:WORD_1 src1_sel:DWORD
	v_sub_u16_e32 v217, v0, v1
	s_waitcnt lgkmcnt(0)
	s_load_dwordx4 s[0:3], s[8:9], 0x0
	v_mov_b32_e32 v5, v4
	buffer_store_dword v5, off, s[20:23], 0 offset:112 ; 4-byte Folded Spill
	s_nop 0
	buffer_store_dword v6, off, s[20:23], 0 offset:116 ; 4-byte Folded Spill
	v_lshlrev_b32_e32 v216, 3, v217
	global_load_dwordx2 v[26:27], v216, s[18:19]
	global_load_dwordx2 v[24:25], v216, s[18:19] offset:1800
	s_waitcnt lgkmcnt(0)
	v_mad_u64_u32 v[0:1], s[6:7], s2, v4, 0
	v_mad_u64_u32 v[2:3], s[6:7], s0, v217, 0
	v_add_co_u32_e64 v214, s[6:7], s18, v216
	v_mad_u64_u32 v[4:5], s[2:3], s3, v4, v[1:2]
	s_movk_i32 s8, 0x1000
	s_load_dwordx2 s[16:17], s[4:5], 0x38
	v_mad_u64_u32 v[5:6], s[2:3], s1, v217, v[3:4]
	v_mov_b32_e32 v1, v4
	v_lshlrev_b64 v[0:1], 3, v[0:1]
	v_mov_b32_e32 v6, s15
	v_mov_b32_e32 v3, v5
	v_add_co_u32_e32 v4, vcc, s14, v0
	v_addc_co_u32_e32 v5, vcc, v6, v1, vcc
	v_lshlrev_b64 v[0:1], 3, v[2:3]
	s_mul_i32 s2, s1, 0xe1
	s_mul_hi_u32 s3, s0, 0xe1
	v_add_co_u32_e32 v0, vcc, v4, v0
	v_mov_b32_e32 v2, s19
	s_add_i32 s3, s3, s2
	s_mul_i32 s2, s0, 0xe1
	v_addc_co_u32_e32 v1, vcc, v5, v1, vcc
	v_addc_co_u32_e64 v215, vcc, 0, v2, s[6:7]
	s_lshl_b64 s[2:3], s[2:3], 3
	v_mov_b32_e32 v44, s3
	v_add_co_u32_e32 v2, vcc, s2, v0
	v_addc_co_u32_e32 v3, vcc, v1, v44, vcc
	v_add_co_u32_e32 v4, vcc, s2, v2
	v_addc_co_u32_e32 v5, vcc, v3, v44, vcc
	global_load_dwordx2 v[6:7], v[0:1], off
	global_load_dwordx2 v[8:9], v[2:3], off
	;; [unrolled: 1-line block ×3, first 2 shown]
	global_load_dwordx2 v[22:23], v216, s[18:19] offset:3600
	v_add_co_u32_e32 v4, vcc, s2, v4
	v_addc_co_u32_e32 v5, vcc, v5, v44, vcc
	v_add_co_u32_e32 v0, vcc, s8, v214
	v_addc_co_u32_e32 v1, vcc, 0, v215, vcc
	s_movk_i32 s8, 0x2000
	v_add_co_u32_e32 v2, vcc, s8, v214
	v_addc_co_u32_e32 v3, vcc, 0, v215, vcc
	global_load_dwordx2 v[66:67], v[0:1], off offset:1304
	global_load_dwordx2 v[12:13], v[4:5], off
	v_add_co_u32_e32 v4, vcc, s2, v4
	v_addc_co_u32_e32 v5, vcc, v5, v44, vcc
	s_load_dwordx4 s[12:15], s[10:11], 0x0
	global_load_dwordx2 v[50:51], v216, s[18:19] offset:2520
	global_load_dwordx2 v[62:63], v216, s[18:19] offset:720
	global_load_dwordx2 v[248:249], v[2:3], off offset:808
	global_load_dwordx2 v[254:255], v[0:1], off offset:3104
	;; [unrolled: 1-line block ×4, first 2 shown]
	global_load_dwordx2 v[14:15], v[4:5], off
	v_add_co_u32_e32 v4, vcc, s2, v4
	v_addc_co_u32_e32 v5, vcc, v5, v44, vcc
	global_load_dwordx2 v[16:17], v[4:5], off
	v_add_co_u32_e32 v4, vcc, s2, v4
	v_addc_co_u32_e32 v5, vcc, v5, v44, vcc
	global_load_dwordx2 v[18:19], v[4:5], off
	s_movk_i32 s8, 0x3000
	s_mulk_i32 s1, 0xf871
	s_waitcnt vmcnt(14)
	v_mul_f32_e32 v20, v7, v27
	v_mul_f32_e32 v21, v6, v27
	v_fmac_f32_e32 v20, v6, v26
	buffer_store_dword v26, off, s[20:23], 0 offset:208 ; 4-byte Folded Spill
	s_nop 0
	buffer_store_dword v27, off, s[20:23], 0 offset:212 ; 4-byte Folded Spill
	s_waitcnt vmcnt(15)
	v_mul_f32_e32 v6, v9, v25
	v_fmac_f32_e32 v6, v8, v24
	v_fma_f32 v21, v7, v26, -v21
	v_mul_f32_e32 v7, v8, v25
	buffer_store_dword v24, off, s[20:23], 0 offset:96 ; 4-byte Folded Spill
	s_nop 0
	buffer_store_dword v25, off, s[20:23], 0 offset:100 ; 4-byte Folded Spill
	s_waitcnt vmcnt(15)
	v_mul_f32_e32 v8, v11, v23
	v_fmac_f32_e32 v8, v10, v22
	v_fma_f32 v7, v9, v24, -v7
	v_mul_f32_e32 v9, v10, v23
	ds_write_b64 v216, v[6:7] offset:1800
	buffer_store_dword v22, off, s[20:23], 0 offset:88 ; 4-byte Folded Spill
	s_nop 0
	buffer_store_dword v23, off, s[20:23], 0 offset:92 ; 4-byte Folded Spill
	v_add_co_u32_e32 v6, vcc, s2, v4
	v_addc_co_u32_e32 v7, vcc, v5, v44, vcc
	v_add_co_u32_e32 v4, vcc, s8, v214
	v_addc_co_u32_e32 v5, vcc, 0, v215, vcc
	s_mul_hi_u32 s8, s0, 0xfffff871
	s_sub_i32 s8, s8, s0
	global_load_dwordx2 v[252:253], v[2:3], off offset:2608
	global_load_dwordx2 v[250:251], v[4:5], off offset:312
	s_add_i32 s1, s8, s1
	s_mulk_i32 s0, 0xf871
	s_lshl_b64 s[10:11], s[0:1], 3
	s_movk_i32 s0, 0x4000
	s_waitcnt vmcnt(17)
	v_mul_f32_e32 v10, v13, v67
	v_fmac_f32_e32 v10, v12, v66
	v_fma_f32 v9, v11, v22, -v9
	ds_write_b64 v216, v[8:9] offset:3600
	global_load_dwordx2 v[8:9], v[6:7], off
	v_add_co_u32_e32 v6, vcc, s2, v6
	v_addc_co_u32_e32 v7, vcc, v7, v44, vcc
	global_load_dwordx2 v[22:23], v[6:7], off
	global_load_dwordx2 v[70:71], v[4:5], off offset:2112
	v_add_co_u32_e32 v6, vcc, s2, v6
	v_addc_co_u32_e32 v7, vcc, v7, v44, vcc
	global_load_dwordx2 v[24:25], v[6:7], off
	global_load_dwordx2 v[68:69], v[4:5], off offset:3912
	v_mov_b32_e32 v11, s11
	v_add_co_u32_e32 v6, vcc, s10, v6
	v_addc_co_u32_e32 v7, vcc, v7, v11, vcc
	global_load_dwordx2 v[26:27], v[6:7], off
	v_add_co_u32_e32 v6, vcc, s2, v6
	v_addc_co_u32_e32 v7, vcc, v7, v44, vcc
	global_load_dwordx2 v[28:29], v[6:7], off
	;; [unrolled: 3-line block ×5, first 2 shown]
	global_load_dwordx2 v[60:61], v[0:1], off offset:3824
	v_add_co_u32_e32 v6, vcc, s2, v6
	v_addc_co_u32_e32 v7, vcc, v7, v44, vcc
	global_load_dwordx2 v[36:37], v[6:7], off
	global_load_dwordx2 v[56:57], v[2:3], off offset:3328
	global_load_dwordx2 v[64:65], v[2:3], off offset:1528
	v_add_co_u32_e32 v6, vcc, s2, v6
	v_addc_co_u32_e32 v7, vcc, v7, v44, vcc
	global_load_dwordx2 v[38:39], v[6:7], off
	v_add_co_u32_e32 v6, vcc, s2, v6
	v_addc_co_u32_e32 v7, vcc, v7, v44, vcc
	global_load_dwordx2 v[40:41], v[6:7], off
	global_load_dwordx2 v[52:53], v[4:5], off offset:2832
	global_load_dwordx2 v[58:59], v[4:5], off offset:1032
	v_add_co_u32_e32 v6, vcc, s2, v6
	v_addc_co_u32_e32 v7, vcc, v7, v44, vcc
	global_load_dwordx2 v[42:43], v[6:7], off
	v_add_co_u32_e32 v6, vcc, s2, v6
	v_addc_co_u32_e32 v7, vcc, v7, v44, vcc
	v_add_co_u32_e32 v46, vcc, s0, v214
	v_addc_co_u32_e32 v47, vcc, 0, v215, vcc
	global_load_dwordx2 v[44:45], v[6:7], off
	v_mul_f32_e32 v11, v12, v67
	global_load_dwordx2 v[46:47], v[46:47], off offset:536
	s_nop 0
	buffer_store_dword v66, off, s[20:23], 0 offset:80 ; 4-byte Folded Spill
	s_nop 0
	buffer_store_dword v67, off, s[20:23], 0 offset:84 ; 4-byte Folded Spill
	v_cmp_gt_u16_e64 s[0:1], 45, v217
	v_fma_f32 v11, v13, v66, -v11
	ds_write_b64 v216, v[10:11] offset:5400
	s_waitcnt vmcnt(33)
	v_mul_f32_e32 v10, v15, v255
	v_mul_f32_e32 v11, v14, v255
	v_fmac_f32_e32 v10, v14, v254
	v_fma_f32 v11, v15, v254, -v11
	ds_write_b64 v216, v[10:11] offset:7200
	s_waitcnt vmcnt(32)
	v_mul_f32_e32 v10, v17, v249
	v_mul_f32_e32 v11, v16, v249
	v_fmac_f32_e32 v10, v16, v248
	;; [unrolled: 6-line block ×3, first 2 shown]
	v_fma_f32 v11, v19, v252, -v11
	ds_write_b64 v216, v[10:11] offset:10800
	s_waitcnt vmcnt(22)
	v_mul_f32_e32 v10, v9, v251
	v_fmac_f32_e32 v10, v8, v250
	v_mul_f32_e32 v8, v8, v251
	v_fma_f32 v11, v9, v250, -v8
	s_waitcnt vmcnt(20)
	v_mul_f32_e32 v8, v23, v71
	ds_write_b64 v216, v[10:11] offset:12600
	v_fmac_f32_e32 v8, v22, v70
	v_mul_f32_e32 v9, v22, v71
	buffer_store_dword v70, off, s[20:23], 0 offset:216 ; 4-byte Folded Spill
	s_nop 0
	buffer_store_dword v71, off, s[20:23], 0 offset:220 ; 4-byte Folded Spill
	v_fma_f32 v9, v23, v70, -v9
	ds_write_b64 v216, v[8:9] offset:14400
	s_waitcnt vmcnt(20)
	v_mul_f32_e32 v8, v25, v69
	v_fmac_f32_e32 v8, v24, v68
	v_mul_f32_e32 v9, v24, v69
	buffer_store_dword v68, off, s[20:23], 0 offset:104 ; 4-byte Folded Spill
	s_nop 0
	buffer_store_dword v69, off, s[20:23], 0 offset:108 ; 4-byte Folded Spill
	v_fma_f32 v9, v25, v68, -v9
	ds_write_b64 v216, v[8:9] offset:16200
	s_waitcnt vmcnt(21)
	v_mul_f32_e32 v8, v27, v63
	v_fmac_f32_e32 v8, v26, v62
	v_mul_f32_e32 v9, v26, v63
	buffer_store_dword v62, off, s[20:23], 0 offset:64 ; 4-byte Folded Spill
	s_nop 0
	buffer_store_dword v63, off, s[20:23], 0 offset:68 ; 4-byte Folded Spill
	v_fma_f32 v9, v27, v62, -v9
	ds_write2_b64 v216, v[20:21], v[8:9] offset1:90
	s_waitcnt vmcnt(22)
	v_mul_f32_e32 v8, v29, v51
	v_fmac_f32_e32 v8, v28, v50
	v_mul_f32_e32 v9, v28, v51
	buffer_store_dword v50, off, s[20:23], 0 offset:8 ; 4-byte Folded Spill
	s_nop 0
	buffer_store_dword v51, off, s[20:23], 0 offset:12 ; 4-byte Folded Spill
	v_fma_f32 v9, v29, v50, -v9
	ds_write_b64 v216, v[8:9] offset:2520
	s_waitcnt vmcnt(23)
	v_mul_f32_e32 v8, v31, v55
	v_fmac_f32_e32 v8, v30, v54
	v_mul_f32_e32 v9, v30, v55
	buffer_store_dword v54, off, s[20:23], 0 offset:32 ; 4-byte Folded Spill
	s_nop 0
	buffer_store_dword v55, off, s[20:23], 0 offset:36 ; 4-byte Folded Spill
	v_fma_f32 v9, v31, v54, -v9
	ds_write_b64 v216, v[8:9] offset:4320
	s_waitcnt vmcnt(24)
	v_mul_f32_e32 v8, v33, v49
	v_fmac_f32_e32 v8, v32, v48
	v_mul_f32_e32 v9, v32, v49
	buffer_store_dword v48, off, s[20:23], 0 ; 4-byte Folded Spill
	s_nop 0
	buffer_store_dword v49, off, s[20:23], 0 offset:4 ; 4-byte Folded Spill
	v_fma_f32 v9, v33, v48, -v9
	ds_write_b64 v216, v[8:9] offset:6120
	s_waitcnt vmcnt(24)
	v_mul_f32_e32 v8, v35, v61
	v_fmac_f32_e32 v8, v34, v60
	v_mul_f32_e32 v9, v34, v61
	buffer_store_dword v60, off, s[20:23], 0 offset:56 ; 4-byte Folded Spill
	s_nop 0
	buffer_store_dword v61, off, s[20:23], 0 offset:60 ; 4-byte Folded Spill
	v_fma_f32 v9, v35, v60, -v9
	ds_write_b64 v216, v[8:9] offset:7920
	s_waitcnt vmcnt(23)
	v_mul_f32_e32 v8, v37, v65
	v_fmac_f32_e32 v8, v36, v64
	v_mul_f32_e32 v9, v36, v65
	buffer_store_dword v64, off, s[20:23], 0 offset:72 ; 4-byte Folded Spill
	;; [unrolled: 9-line block ×6, first 2 shown]
	s_nop 0
	buffer_store_dword v47, off, s[20:23], 0 offset:28 ; 4-byte Folded Spill
	v_fma_f32 v9, v45, v46, -v9
	ds_write_b64 v216, v[8:9] offset:16920
	s_and_saveexec_b64 s[8:9], s[0:1]
	s_cbranch_execz .LBB0_3
; %bb.2:
	v_mov_b32_e32 v8, s11
	v_add_co_u32_e32 v6, vcc, s10, v6
	v_addc_co_u32_e32 v7, vcc, v7, v8, vcc
	global_load_dwordx2 v[8:9], v[6:7], off
	v_mov_b32_e32 v40, s3
	v_add_co_u32_e32 v6, vcc, s2, v6
	v_addc_co_u32_e32 v7, vcc, v7, v40, vcc
	global_load_dwordx2 v[10:11], v[6:7], off
	v_add_co_u32_e32 v6, vcc, s2, v6
	v_addc_co_u32_e32 v7, vcc, v7, v40, vcc
	global_load_dwordx2 v[12:13], v[6:7], off
	;; [unrolled: 3-line block ×3, first 2 shown]
	global_load_dwordx2 v[16:17], v[214:215], off offset:1440
	global_load_dwordx2 v[18:19], v[214:215], off offset:3240
	global_load_dwordx2 v[20:21], v[0:1], off offset:944
	global_load_dwordx2 v[22:23], v[0:1], off offset:2744
	v_add_co_u32_e32 v0, vcc, s2, v6
	v_addc_co_u32_e32 v1, vcc, v7, v40, vcc
	global_load_dwordx2 v[6:7], v[0:1], off
	global_load_dwordx2 v[24:25], v[2:3], off offset:448
	v_add_co_u32_e32 v0, vcc, s2, v0
	v_addc_co_u32_e32 v1, vcc, v1, v40, vcc
	global_load_dwordx2 v[26:27], v[0:1], off
	v_add_co_u32_e32 v0, vcc, s2, v0
	v_addc_co_u32_e32 v1, vcc, v1, v40, vcc
	global_load_dwordx2 v[28:29], v[0:1], off
	v_add_co_u32_e32 v0, vcc, s2, v0
	v_addc_co_u32_e32 v1, vcc, v1, v40, vcc
	global_load_dwordx2 v[30:31], v[2:3], off offset:2248
	global_load_dwordx2 v[32:33], v[0:1], off
	global_load_dwordx2 v[34:35], v[2:3], off offset:4048
	global_load_dwordx2 v[36:37], v[4:5], off offset:1752
	v_add_co_u32_e32 v0, vcc, s2, v0
	v_addc_co_u32_e32 v1, vcc, v1, v40, vcc
	global_load_dwordx2 v[2:3], v[0:1], off
	global_load_dwordx2 v[38:39], v[4:5], off offset:3552
	v_add_co_u32_e32 v0, vcc, s2, v0
	v_addc_co_u32_e32 v1, vcc, v1, v40, vcc
	v_add_co_u32_e32 v4, vcc, 0x4000, v214
	v_addc_co_u32_e32 v5, vcc, 0, v215, vcc
	global_load_dwordx2 v[40:41], v[4:5], off offset:1256
	global_load_dwordx2 v[42:43], v[0:1], off
	v_add_u32_e32 v44, 0x500, v216
	v_add_u32_e32 v45, 0x1300, v216
	s_waitcnt vmcnt(15)
	v_mul_f32_e32 v0, v9, v17
	v_mul_f32_e32 v1, v8, v17
	s_waitcnt vmcnt(14)
	v_mul_f32_e32 v4, v11, v19
	v_mul_f32_e32 v5, v10, v19
	v_fmac_f32_e32 v0, v8, v16
	v_fma_f32 v1, v9, v16, -v1
	v_fmac_f32_e32 v4, v10, v18
	v_fma_f32 v5, v11, v18, -v5
	s_waitcnt vmcnt(13)
	v_mul_f32_e32 v8, v13, v21
	v_mul_f32_e32 v9, v12, v21
	ds_write2_b64 v44, v[0:1], v[4:5] offset0:20 offset1:245
	s_waitcnt vmcnt(12)
	v_mul_f32_e32 v0, v15, v23
	v_mul_f32_e32 v1, v14, v23
	v_fmac_f32_e32 v8, v12, v20
	v_fma_f32 v9, v13, v20, -v9
	v_fmac_f32_e32 v0, v14, v22
	v_fma_f32 v1, v15, v22, -v1
	ds_write2_b64 v45, v[8:9], v[0:1] offset0:22 offset1:247
	s_waitcnt vmcnt(10)
	v_mul_f32_e32 v0, v6, v25
	v_mul_f32_e32 v4, v7, v25
	v_fma_f32 v5, v7, v24, -v0
	s_waitcnt vmcnt(7)
	v_mul_f32_e32 v0, v27, v31
	v_mul_f32_e32 v1, v26, v31
	v_fmac_f32_e32 v4, v6, v24
	v_fmac_f32_e32 v0, v26, v30
	v_fma_f32 v1, v27, v30, -v1
	v_add_u32_e32 v6, 0x2100, v216
	ds_write2_b64 v6, v[4:5], v[0:1] offset0:24 offset1:249
	s_waitcnt vmcnt(5)
	v_mul_f32_e32 v0, v29, v35
	v_mul_f32_e32 v1, v28, v35
	s_waitcnt vmcnt(4)
	v_mul_f32_e32 v4, v33, v37
	v_mul_f32_e32 v5, v32, v37
	v_fmac_f32_e32 v0, v28, v34
	v_fma_f32 v1, v29, v34, -v1
	v_fmac_f32_e32 v4, v32, v36
	v_fma_f32 v5, v33, v36, -v5
	v_add_u32_e32 v6, 0x2f00, v216
	ds_write2_b64 v6, v[0:1], v[4:5] offset0:26 offset1:251
	s_waitcnt vmcnt(2)
	v_mul_f32_e32 v0, v3, v39
	v_mul_f32_e32 v1, v2, v39
	v_fmac_f32_e32 v0, v2, v38
	v_fma_f32 v1, v3, v38, -v1
	s_waitcnt vmcnt(0)
	v_mul_f32_e32 v2, v43, v41
	v_mul_f32_e32 v3, v42, v41
	v_fmac_f32_e32 v2, v42, v40
	v_fma_f32 v3, v43, v40, -v3
	v_add_u32_e32 v4, 0x3d00, v216
	ds_write2_b64 v4, v[0:1], v[2:3] offset0:28 offset1:253
.LBB0_3:
	s_or_b64 exec, exec, s[8:9]
	v_add_u32_e32 v0, 0x400, v216
	s_waitcnt vmcnt(0) lgkmcnt(0)
	s_barrier
	ds_read2_b64 v[24:27], v0 offset0:97 offset1:187
	v_add_u32_e32 v0, 0xc00, v216
	ds_read2_b64 v[44:47], v0 offset0:66 offset1:156
	v_add_u32_e32 v0, 0x1000, v216
	;; [unrolled: 2-line block ×8, first 2 shown]
	ds_read2_b64 v[20:23], v216 offset1:90
	ds_read2_b64 v[40:43], v0 offset0:105 offset1:195
                                        ; implicit-def: $vgpr8
                                        ; implicit-def: $vgpr0
                                        ; implicit-def: $vgpr4
                                        ; implicit-def: $vgpr12
                                        ; implicit-def: $vgpr16
	s_and_saveexec_b64 s[2:3], s[0:1]
	s_cbranch_execz .LBB0_5
; %bb.4:
	v_add_u32_e32 v0, 0x500, v216
	ds_read2_b64 v[8:11], v0 offset0:20 offset1:245
	v_add_u32_e32 v0, 0x1300, v216
	v_add_u32_e32 v4, 0x2100, v216
	;; [unrolled: 1-line block ×4, first 2 shown]
	ds_read2_b64 v[0:3], v0 offset0:22 offset1:247
	ds_read2_b64 v[4:7], v4 offset0:24 offset1:249
	;; [unrolled: 1-line block ×4, first 2 shown]
.LBB0_5:
	s_or_b64 exec, exec, s[2:3]
	s_waitcnt lgkmcnt(1)
	v_add_f32_e32 v60, v20, v44
	v_add_f32_e32 v60, v60, v48
	;; [unrolled: 1-line block ×5, first 2 shown]
	v_fma_f32 v71, -0.5, v60, v20
	v_sub_f32_e32 v60, v45, v57
	v_mov_b32_e32 v72, v71
	v_fmac_f32_e32 v72, 0x3f737871, v60
	v_sub_f32_e32 v61, v49, v53
	v_sub_f32_e32 v62, v44, v48
	;; [unrolled: 1-line block ×3, first 2 shown]
	v_fmac_f32_e32 v71, 0xbf737871, v60
	v_fmac_f32_e32 v72, 0x3f167918, v61
	v_add_f32_e32 v62, v62, v63
	v_fmac_f32_e32 v71, 0xbf167918, v61
	v_fmac_f32_e32 v72, 0x3e9e377a, v62
	;; [unrolled: 1-line block ×3, first 2 shown]
	v_add_f32_e32 v62, v44, v56
	v_fma_f32 v20, -0.5, v62, v20
	v_mov_b32_e32 v73, v20
	v_fmac_f32_e32 v73, 0xbf737871, v61
	v_fmac_f32_e32 v20, 0x3f737871, v61
	;; [unrolled: 1-line block ×4, first 2 shown]
	v_add_f32_e32 v60, v21, v45
	v_add_f32_e32 v60, v60, v49
	;; [unrolled: 1-line block ×5, first 2 shown]
	v_fma_f32 v79, -0.5, v60, v21
	v_sub_f32_e32 v62, v48, v44
	v_sub_f32_e32 v63, v52, v56
	;; [unrolled: 1-line block ×3, first 2 shown]
	v_mov_b32_e32 v56, v79
	v_fmac_f32_e32 v56, 0xbf737871, v44
	v_sub_f32_e32 v48, v48, v52
	v_sub_f32_e32 v52, v45, v49
	;; [unrolled: 1-line block ×3, first 2 shown]
	v_fmac_f32_e32 v79, 0x3f737871, v44
	v_fmac_f32_e32 v56, 0xbf167918, v48
	v_add_f32_e32 v52, v52, v60
	v_fmac_f32_e32 v79, 0x3f167918, v48
	v_fmac_f32_e32 v56, 0x3e9e377a, v52
	;; [unrolled: 1-line block ×3, first 2 shown]
	v_add_f32_e32 v52, v45, v57
	v_fma_f32 v21, -0.5, v52, v21
	v_mov_b32_e32 v52, v21
	v_fmac_f32_e32 v52, 0x3f737871, v48
	v_sub_f32_e32 v45, v49, v45
	v_sub_f32_e32 v49, v53, v57
	v_fmac_f32_e32 v21, 0xbf737871, v48
	v_fmac_f32_e32 v52, 0xbf167918, v44
	v_add_f32_e32 v45, v45, v49
	v_fmac_f32_e32 v21, 0x3f167918, v44
	v_fmac_f32_e32 v52, 0x3e9e377a, v45
	;; [unrolled: 1-line block ×3, first 2 shown]
	v_add_f32_e32 v45, v32, v36
	v_fma_f32 v45, -0.5, v45, v24
	s_waitcnt lgkmcnt(0)
	v_sub_f32_e32 v48, v29, v41
	v_mov_b32_e32 v49, v45
	v_fmac_f32_e32 v49, 0x3f737871, v48
	v_sub_f32_e32 v53, v33, v37
	v_sub_f32_e32 v57, v28, v32
	;; [unrolled: 1-line block ×3, first 2 shown]
	v_fmac_f32_e32 v45, 0xbf737871, v48
	v_fmac_f32_e32 v49, 0x3f167918, v53
	v_add_f32_e32 v57, v57, v60
	v_fmac_f32_e32 v45, 0xbf167918, v53
	v_fmac_f32_e32 v49, 0x3e9e377a, v57
	;; [unrolled: 1-line block ×3, first 2 shown]
	v_add_f32_e32 v57, v28, v40
	v_add_f32_e32 v44, v24, v28
	v_fma_f32 v24, -0.5, v57, v24
	v_mov_b32_e32 v57, v24
	v_add_f32_e32 v44, v44, v32
	v_fmac_f32_e32 v57, 0xbf737871, v53
	v_fmac_f32_e32 v24, 0x3f737871, v53
	v_add_f32_e32 v53, v33, v37
	v_add_f32_e32 v44, v44, v36
	v_sub_f32_e32 v60, v32, v28
	v_sub_f32_e32 v61, v36, v40
	v_fma_f32 v53, -0.5, v53, v25
	v_add_f32_e32 v44, v44, v40
	v_fmac_f32_e32 v57, 0x3f167918, v48
	v_add_f32_e32 v60, v60, v61
	v_fmac_f32_e32 v24, 0xbf167918, v48
	v_sub_f32_e32 v28, v28, v40
	v_mov_b32_e32 v40, v53
	v_fmac_f32_e32 v57, 0x3e9e377a, v60
	v_fmac_f32_e32 v24, 0x3e9e377a, v60
	;; [unrolled: 1-line block ×3, first 2 shown]
	v_sub_f32_e32 v32, v32, v36
	v_sub_f32_e32 v36, v29, v33
	;; [unrolled: 1-line block ×3, first 2 shown]
	v_fmac_f32_e32 v53, 0x3f737871, v28
	v_fmac_f32_e32 v40, 0xbf167918, v32
	v_add_f32_e32 v36, v36, v60
	v_fmac_f32_e32 v53, 0x3f167918, v32
	s_movk_i32 s2, 0x5a
	v_fmac_f32_e32 v40, 0x3e9e377a, v36
	v_fmac_f32_e32 v53, 0x3e9e377a, v36
	v_add_f32_e32 v36, v29, v41
	v_add_co_u32_e32 v191, vcc, s2, v217
	v_add_f32_e32 v48, v25, v29
	v_fma_f32 v25, -0.5, v36, v25
	v_addc_co_u32_e64 v96, s[2:3], 0, 0, vcc
	v_add_f32_e32 v48, v48, v33
	v_mov_b32_e32 v36, v25
	v_sub_f32_e32 v29, v33, v29
	v_sub_f32_e32 v33, v37, v41
	v_fmac_f32_e32 v25, 0xbf737871, v32
	s_movk_i32 s2, 0xb4
	v_add_f32_e32 v29, v29, v33
	v_fmac_f32_e32 v25, 0x3f167918, v28
	v_add_co_u32_e32 v190, vcc, s2, v217
	s_mov_b32 s2, 0x3f737871
	v_fmac_f32_e32 v36, 0x3f737871, v32
	v_fmac_f32_e32 v25, 0x3e9e377a, v29
	v_mul_f32_e32 v32, 0x3e9e377a, v24
	s_mov_b32 s3, 0xbf737871
	v_fma_f32 v32, v25, s2, -v32
	v_mul_f32_e32 v25, 0x3e9e377a, v25
	v_fmac_f32_e32 v36, 0xbf167918, v28
	v_fma_f32 v24, v24, s3, -v25
	s_load_dwordx2 s[10:11], s[4:5], 0x8
	s_mov_b32 s5, 0xbf167918
	v_fmac_f32_e32 v36, 0x3e9e377a, v29
	v_add_f32_e32 v67, v21, v24
	v_mul_f32_e32 v25, 0x3f4f1bbd, v53
	v_sub_f32_e32 v77, v21, v24
	v_add_f32_e32 v21, v50, v54
	v_add_f32_e32 v62, v62, v63
	v_mul_f32_e32 v28, 0x3f4f1bbd, v49
	v_mul_f32_e32 v29, 0x3f737871, v36
	v_fma_f32 v25, v45, s5, -v25
	v_fma_f32 v21, -0.5, v21, v22
	v_fmac_f32_e32 v73, 0x3e9e377a, v62
	v_fmac_f32_e32 v20, 0x3e9e377a, v62
	;; [unrolled: 1-line block ×4, first 2 shown]
	v_add_f32_e32 v69, v79, v25
	v_sub_f32_e32 v79, v79, v25
	v_sub_f32_e32 v24, v47, v59
	v_mov_b32_e32 v25, v21
	v_add_f32_e32 v62, v72, v28
	v_add_f32_e32 v64, v73, v29
	;; [unrolled: 1-line block ×3, first 2 shown]
	v_sub_f32_e32 v72, v72, v28
	v_sub_f32_e32 v74, v73, v29
	;; [unrolled: 1-line block ×3, first 2 shown]
	v_fmac_f32_e32 v25, 0x3f737871, v24
	v_sub_f32_e32 v28, v51, v55
	v_sub_f32_e32 v29, v46, v50
	;; [unrolled: 1-line block ×3, first 2 shown]
	v_fmac_f32_e32 v21, 0xbf737871, v24
	v_fmac_f32_e32 v25, 0x3f167918, v28
	v_add_f32_e32 v29, v29, v32
	v_fmac_f32_e32 v21, 0xbf167918, v28
	v_fmac_f32_e32 v25, 0x3e9e377a, v29
	;; [unrolled: 1-line block ×3, first 2 shown]
	v_add_f32_e32 v29, v46, v58
	v_add_f32_e32 v48, v48, v37
	;; [unrolled: 1-line block ×3, first 2 shown]
	v_fma_f32 v22, -0.5, v29, v22
	v_add_f32_e32 v48, v48, v41
	v_mov_b32_e32 v41, v22
	v_fmac_f32_e32 v41, 0xbf737871, v28
	v_fmac_f32_e32 v22, 0x3f737871, v28
	v_add_f32_e32 v28, v51, v55
	s_mov_b32 s4, 0x3f167918
	v_add_f32_e32 v60, v70, v44
	v_mul_f32_e32 v33, 0x3f4f1bbd, v45
	v_sub_f32_e32 v70, v70, v44
	v_sub_f32_e32 v29, v50, v46
	;; [unrolled: 1-line block ×3, first 2 shown]
	v_fma_f32 v44, -0.5, v28, v23
	v_fma_f32 v33, v53, s4, -v33
	v_fmac_f32_e32 v41, 0x3f167918, v24
	v_add_f32_e32 v29, v29, v32
	v_fmac_f32_e32 v22, 0xbf167918, v24
	v_sub_f32_e32 v28, v46, v58
	v_mov_b32_e32 v45, v44
	v_add_f32_e32 v68, v71, v33
	v_sub_f32_e32 v78, v71, v33
	v_fmac_f32_e32 v41, 0x3e9e377a, v29
	v_fmac_f32_e32 v22, 0x3e9e377a, v29
	;; [unrolled: 1-line block ×3, first 2 shown]
	v_sub_f32_e32 v29, v50, v54
	v_sub_f32_e32 v32, v47, v51
	;; [unrolled: 1-line block ×3, first 2 shown]
	v_fmac_f32_e32 v44, 0x3f737871, v28
	v_fmac_f32_e32 v45, 0xbf167918, v29
	v_add_f32_e32 v32, v32, v33
	v_fmac_f32_e32 v44, 0x3f167918, v29
	v_fmac_f32_e32 v45, 0x3e9e377a, v32
	;; [unrolled: 1-line block ×3, first 2 shown]
	v_add_f32_e32 v32, v47, v59
	v_add_f32_e32 v24, v23, v47
	v_fmac_f32_e32 v23, -0.5, v32
	v_mov_b32_e32 v46, v23
	v_fmac_f32_e32 v46, 0x3f737871, v29
	v_fmac_f32_e32 v23, 0xbf737871, v29
	v_mul_f32_e32 v37, 0xbf167918, v49
	v_fmac_f32_e32 v46, 0xbf167918, v28
	v_fmac_f32_e32 v23, 0x3f167918, v28
	v_add_f32_e32 v28, v26, v30
	v_fmac_f32_e32 v37, 0x3f4f1bbd, v40
	v_mul_f32_e32 v40, 0xbf737871, v57
	v_add_f32_e32 v28, v28, v34
	v_fmac_f32_e32 v40, 0x3e9e377a, v36
	v_add_f32_e32 v28, v28, v38
	v_add_f32_e32 v61, v75, v48
	;; [unrolled: 1-line block ×3, first 2 shown]
	v_sub_f32_e32 v71, v75, v48
	v_sub_f32_e32 v75, v52, v40
	v_add_f32_e32 v40, v28, v42
	v_add_f32_e32 v28, v34, v38
	;; [unrolled: 1-line block ×3, first 2 shown]
	v_sub_f32_e32 v73, v56, v37
	v_sub_f32_e32 v32, v51, v47
	;; [unrolled: 1-line block ×3, first 2 shown]
	v_fma_f32 v37, -0.5, v28, v26
	v_add_f32_e32 v32, v32, v33
	v_sub_f32_e32 v28, v31, v43
	v_mov_b32_e32 v33, v37
	v_fmac_f32_e32 v46, 0x3e9e377a, v32
	v_fmac_f32_e32 v23, 0x3e9e377a, v32
	;; [unrolled: 1-line block ×3, first 2 shown]
	v_sub_f32_e32 v29, v35, v39
	v_sub_f32_e32 v32, v30, v34
	v_sub_f32_e32 v36, v42, v38
	v_fmac_f32_e32 v37, 0xbf737871, v28
	v_fmac_f32_e32 v33, 0x3f167918, v29
	v_add_f32_e32 v32, v32, v36
	v_fmac_f32_e32 v37, 0xbf167918, v29
	v_fmac_f32_e32 v33, 0x3e9e377a, v32
	;; [unrolled: 1-line block ×3, first 2 shown]
	v_add_f32_e32 v32, v30, v42
	v_fma_f32 v26, -0.5, v32, v26
	v_mov_b32_e32 v47, v26
	v_fmac_f32_e32 v47, 0xbf737871, v29
	v_fmac_f32_e32 v26, 0x3f737871, v29
	;; [unrolled: 1-line block ×4, first 2 shown]
	v_add_f32_e32 v28, v27, v31
	v_add_f32_e32 v28, v28, v35
	;; [unrolled: 1-line block ×5, first 2 shown]
	v_sub_f32_e32 v32, v34, v30
	v_sub_f32_e32 v36, v38, v42
	v_fma_f32 v48, -0.5, v28, v27
	v_add_f32_e32 v32, v32, v36
	v_sub_f32_e32 v28, v30, v42
	v_mov_b32_e32 v42, v48
	v_fmac_f32_e32 v47, 0x3e9e377a, v32
	v_fmac_f32_e32 v26, 0x3e9e377a, v32
	;; [unrolled: 1-line block ×3, first 2 shown]
	v_sub_f32_e32 v29, v34, v38
	v_sub_f32_e32 v30, v31, v35
	;; [unrolled: 1-line block ×3, first 2 shown]
	v_fmac_f32_e32 v48, 0x3f737871, v28
	v_fmac_f32_e32 v42, 0xbf167918, v29
	v_add_f32_e32 v30, v30, v32
	v_fmac_f32_e32 v48, 0x3f167918, v29
	v_fmac_f32_e32 v42, 0x3e9e377a, v30
	;; [unrolled: 1-line block ×3, first 2 shown]
	v_add_f32_e32 v30, v31, v43
	v_fmac_f32_e32 v27, -0.5, v30
	v_mov_b32_e32 v38, v27
	v_sub_f32_e32 v30, v35, v31
	v_sub_f32_e32 v31, v39, v43
	v_fmac_f32_e32 v27, 0xbf737871, v29
	v_fmac_f32_e32 v38, 0x3f737871, v29
	v_add_f32_e32 v30, v30, v31
	v_fmac_f32_e32 v27, 0x3f167918, v28
	v_fmac_f32_e32 v38, 0xbf167918, v28
	;; [unrolled: 1-line block ×3, first 2 shown]
	v_mul_f32_e32 v29, 0x3e9e377a, v26
	v_add_f32_e32 v20, v20, v50
	v_fmac_f32_e32 v38, 0x3e9e377a, v30
	v_fma_f32 v50, v27, s2, -v29
	v_mul_f32_e32 v29, 0x3f4f1bbd, v37
	v_add_f32_e32 v20, v20, v54
	v_add_f32_e32 v24, v24, v51
	v_mul_f32_e32 v39, 0x3f4f1bbd, v33
	v_mul_f32_e32 v43, 0x3f737871, v38
	v_fma_f32 v51, v48, s4, -v29
	v_mul_f32_e32 v27, 0x3e9e377a, v27
	v_add_f32_e32 v20, v20, v58
	v_add_f32_e32 v24, v24, v55
	v_fmac_f32_e32 v39, 0x3f167918, v42
	v_fmac_f32_e32 v43, 0x3e9e377a, v47
	v_add_f32_e32 v34, v22, v50
	v_add_f32_e32 v36, v21, v51
	v_mul_f32_e32 v47, 0xbf737871, v47
	v_fma_f32 v26, v26, s3, -v27
	v_mul_f32_e32 v27, 0x3f4f1bbd, v48
	v_sub_f32_e32 v48, v22, v50
	v_sub_f32_e32 v50, v21, v51
	v_add_f32_e32 v21, v4, v12
	v_add_f32_e32 v24, v24, v59
	;; [unrolled: 1-line block ×4, first 2 shown]
	v_fmac_f32_e32 v47, 0x3e9e377a, v38
	v_sub_f32_e32 v38, v20, v40
	v_sub_f32_e32 v40, v25, v39
	v_fma_f32 v25, -0.5, v21, v8
	v_add_f32_e32 v29, v24, v49
	v_add_f32_e32 v35, v23, v26
	v_sub_f32_e32 v39, v24, v49
	v_sub_f32_e32 v49, v23, v26
	;; [unrolled: 1-line block ×3, first 2 shown]
	v_mov_b32_e32 v21, v25
	v_fmac_f32_e32 v21, 0x3f737871, v23
	v_sub_f32_e32 v24, v5, v13
	v_sub_f32_e32 v22, v0, v4
	;; [unrolled: 1-line block ×3, first 2 shown]
	v_fmac_f32_e32 v25, 0xbf737871, v23
	v_fmac_f32_e32 v21, 0x3f167918, v24
	v_add_f32_e32 v22, v22, v26
	v_fmac_f32_e32 v25, 0xbf167918, v24
	v_fmac_f32_e32 v21, 0x3e9e377a, v22
	;; [unrolled: 1-line block ×3, first 2 shown]
	v_add_f32_e32 v22, v0, v16
	v_add_f32_e32 v20, v8, v0
	v_fmac_f32_e32 v8, -0.5, v22
	v_fma_f32 v27, v37, s5, -v27
	v_mov_b32_e32 v22, v8
	v_add_f32_e32 v37, v44, v27
	v_sub_f32_e32 v51, v44, v27
	v_fmac_f32_e32 v22, 0xbf737871, v24
	v_sub_f32_e32 v26, v4, v0
	v_sub_f32_e32 v27, v12, v16
	v_fmac_f32_e32 v8, 0x3f737871, v24
	v_add_f32_e32 v20, v20, v4
	v_fmac_f32_e32 v22, 0x3f167918, v23
	v_add_f32_e32 v26, v26, v27
	;; [unrolled: 2-line block ×3, first 2 shown]
	v_add_f32_e32 v20, v20, v12
	v_fmac_f32_e32 v22, 0x3e9e377a, v26
	v_fmac_f32_e32 v8, 0x3e9e377a, v26
	v_fma_f32 v26, -0.5, v24, v9
	v_add_f32_e32 v20, v20, v16
	v_sub_f32_e32 v0, v0, v16
	v_mov_b32_e32 v16, v26
	v_fmac_f32_e32 v16, 0xbf737871, v0
	v_sub_f32_e32 v4, v4, v12
	v_sub_f32_e32 v12, v1, v5
	;; [unrolled: 1-line block ×3, first 2 shown]
	v_fmac_f32_e32 v26, 0x3f737871, v0
	v_fmac_f32_e32 v16, 0xbf167918, v4
	v_add_f32_e32 v12, v12, v24
	v_fmac_f32_e32 v26, 0x3f167918, v4
	v_fmac_f32_e32 v16, 0x3e9e377a, v12
	;; [unrolled: 1-line block ×3, first 2 shown]
	v_add_f32_e32 v12, v1, v17
	v_add_f32_e32 v23, v9, v1
	v_fmac_f32_e32 v9, -0.5, v12
	v_mov_b32_e32 v12, v9
	v_fmac_f32_e32 v12, 0x3f737871, v4
	v_fmac_f32_e32 v9, 0xbf737871, v4
	;; [unrolled: 1-line block ×4, first 2 shown]
	v_add_f32_e32 v0, v10, v2
	v_add_f32_e32 v0, v0, v6
	;; [unrolled: 1-line block ×5, first 2 shown]
	v_sub_f32_e32 v1, v5, v1
	v_sub_f32_e32 v5, v13, v17
	v_add_f32_e32 v13, v0, v18
	v_add_f32_e32 v0, v6, v14
	;; [unrolled: 1-line block ×3, first 2 shown]
	v_fma_f32 v0, -0.5, v0, v10
	v_fmac_f32_e32 v12, 0x3e9e377a, v1
	v_fmac_f32_e32 v9, 0x3e9e377a, v1
	v_sub_f32_e32 v1, v3, v19
	v_mov_b32_e32 v4, v0
	v_add_f32_e32 v23, v23, v17
	v_fmac_f32_e32 v4, 0x3f737871, v1
	v_sub_f32_e32 v5, v7, v15
	v_sub_f32_e32 v17, v2, v6
	;; [unrolled: 1-line block ×3, first 2 shown]
	v_fmac_f32_e32 v0, 0xbf737871, v1
	v_fmac_f32_e32 v4, 0x3f167918, v5
	v_add_f32_e32 v17, v17, v24
	v_fmac_f32_e32 v0, 0xbf167918, v5
	v_fmac_f32_e32 v4, 0x3e9e377a, v17
	;; [unrolled: 1-line block ×3, first 2 shown]
	v_add_f32_e32 v17, v2, v18
	v_fmac_f32_e32 v10, -0.5, v17
	v_mov_b32_e32 v24, v10
	v_fmac_f32_e32 v24, 0xbf737871, v5
	v_fmac_f32_e32 v10, 0x3f737871, v5
	;; [unrolled: 1-line block ×4, first 2 shown]
	v_add_f32_e32 v1, v11, v3
	v_sub_f32_e32 v17, v6, v2
	v_sub_f32_e32 v27, v14, v18
	v_add_f32_e32 v1, v1, v7
	v_add_f32_e32 v17, v17, v27
	;; [unrolled: 1-line block ×3, first 2 shown]
	v_fmac_f32_e32 v24, 0x3e9e377a, v17
	v_fmac_f32_e32 v10, 0x3e9e377a, v17
	v_add_f32_e32 v17, v1, v19
	v_add_f32_e32 v1, v7, v15
	v_fma_f32 v1, -0.5, v1, v11
	v_sub_f32_e32 v2, v2, v18
	v_mov_b32_e32 v5, v1
	v_fmac_f32_e32 v5, 0xbf737871, v2
	v_sub_f32_e32 v6, v6, v14
	v_sub_f32_e32 v14, v3, v7
	;; [unrolled: 1-line block ×3, first 2 shown]
	v_fmac_f32_e32 v1, 0x3f737871, v2
	v_fmac_f32_e32 v5, 0xbf167918, v6
	v_add_f32_e32 v14, v14, v18
	v_fmac_f32_e32 v1, 0x3f167918, v6
	v_fmac_f32_e32 v5, 0x3e9e377a, v14
	;; [unrolled: 1-line block ×3, first 2 shown]
	v_add_f32_e32 v14, v3, v19
	v_fmac_f32_e32 v11, -0.5, v14
	v_mov_b32_e32 v27, v11
	v_fmac_f32_e32 v27, 0x3f737871, v6
	v_sub_f32_e32 v3, v7, v3
	v_sub_f32_e32 v7, v15, v19
	v_fmac_f32_e32 v11, 0xbf737871, v6
	v_fmac_f32_e32 v27, 0xbf167918, v2
	v_add_f32_e32 v3, v3, v7
	v_fmac_f32_e32 v11, 0x3f167918, v2
	v_fmac_f32_e32 v27, 0x3e9e377a, v3
	;; [unrolled: 1-line block ×3, first 2 shown]
	v_mul_f32_e32 v2, 0x3e9e377a, v10
	v_mul_f32_e32 v15, 0x3f737871, v27
	v_fma_f32 v18, v11, s2, -v2
	v_mul_f32_e32 v2, 0x3f4f1bbd, v0
	v_mul_f32_e32 v52, 0xbf167918, v33
	;; [unrolled: 1-line block ×3, first 2 shown]
	v_fmac_f32_e32 v15, 0x3e9e377a, v24
	v_fma_f32 v3, v1, s4, -v2
	v_mul_f32_e32 v19, 0xbf167918, v4
	v_mul_f32_e32 v24, 0xbf737871, v24
	;; [unrolled: 1-line block ×4, first 2 shown]
	v_mul_lo_u16_e32 v11, 10, v217
	v_fmac_f32_e32 v52, 0x3f4f1bbd, v42
	v_fmac_f32_e32 v14, 0x3f167918, v5
	;; [unrolled: 1-line block ×4, first 2 shown]
	v_fma_f32 v10, v10, s3, -v2
	v_fma_f32 v7, v0, s5, -v1
	v_lshlrev_b32_e32 v218, 3, v11
	v_mul_u32_u24_e32 v11, 10, v191
	v_add_f32_e32 v32, v41, v43
	v_add_f32_e32 v31, v45, v52
	v_add_f32_e32 v33, v46, v47
	v_sub_f32_e32 v42, v41, v43
	v_sub_f32_e32 v41, v45, v52
	;; [unrolled: 1-line block ×3, first 2 shown]
	v_add_f32_e32 v44, v25, v3
	v_add_f32_e32 v45, v26, v7
	v_sub_f32_e32 v46, v20, v13
	v_sub_f32_e32 v0, v21, v14
	;; [unrolled: 1-line block ×10, first 2 shown]
	v_lshlrev_b32_e32 v219, 3, v11
	v_mul_u32_u24_e32 v11, 10, v190
	s_waitcnt lgkmcnt(0)
	s_barrier
	ds_write_b128 v218, v[60:63]
	ds_write_b128 v218, v[64:67] offset:16
	ds_write_b128 v218, v[68:71] offset:32
	;; [unrolled: 1-line block ×4, first 2 shown]
	ds_write_b128 v219, v[28:31]
	ds_write_b128 v219, v[32:35] offset:16
	ds_write_b128 v219, v[36:39] offset:32
	;; [unrolled: 1-line block ×4, first 2 shown]
	buffer_store_dword v11, off, s[20:23], 0 offset:224 ; 4-byte Folded Spill
	s_and_saveexec_b64 s[2:3], s[0:1]
	s_cbranch_execz .LBB0_7
; %bb.6:
	v_add_f32_e32 v11, v9, v10
	v_add_f32_e32 v9, v12, v24
	v_mul_u32_u24_e32 v12, 10, v190
	v_add_f32_e32 v19, v16, v19
	v_add_f32_e32 v17, v23, v17
	;; [unrolled: 1-line block ×5, first 2 shown]
	v_lshlrev_b32_e32 v12, 3, v12
	v_add_f32_e32 v8, v22, v15
	ds_write_b128 v12, v[16:19]
	ds_write_b128 v12, v[8:11] offset:16
	ds_write_b128 v12, v[44:47] offset:32
	;; [unrolled: 1-line block ×4, first 2 shown]
.LBB0_7:
	s_or_b64 exec, exec, s[2:3]
	v_add_u32_e32 v8, 0x1400, v216
	s_waitcnt vmcnt(0) lgkmcnt(0)
	s_barrier
	ds_read2_b64 v[84:87], v8 offset0:110 offset1:200
	v_add_u32_e32 v8, 0x2c00, v216
	ds_read2_b64 v[88:91], v8 offset0:92 offset1:182
	v_add_u32_e32 v8, 0x400, v216
	;; [unrolled: 2-line block ×10, first 2 shown]
	ds_read2_b64 v[60:63], v216 offset1:90
	ds_read2_b64 v[40:43], v8 offset0:120 offset1:210
	v_cmp_gt_u16_e64 s[2:3], 30, v217
	s_and_saveexec_b64 s[4:5], s[2:3]
	s_cbranch_execz .LBB0_9
; %bb.8:
	ds_read_b64 v[44:45], v216 offset:5760
	ds_read_b64 v[46:47], v216 offset:11760
	;; [unrolled: 1-line block ×3, first 2 shown]
.LBB0_9:
	s_or_b64 exec, exec, s[4:5]
	s_movk_i32 s4, 0xcd
	v_mul_lo_u16_sdwa v8, v217, s4 dst_sel:DWORD dst_unused:UNUSED_PAD src0_sel:BYTE_0 src1_sel:DWORD
	v_lshrrev_b16_e32 v108, 11, v8
	v_mul_lo_u16_e32 v8, 10, v108
	v_sub_u16_e32 v8, v217, v8
	v_and_b32_e32 v109, 0xff, v8
	v_mul_lo_u16_sdwa v8, v191, s4 dst_sel:DWORD dst_unused:UNUSED_PAD src0_sel:BYTE_0 src1_sel:DWORD
	v_lshrrev_b16_e32 v106, 11, v8
	v_mul_lo_u16_e32 v8, 10, v106
	v_sub_u16_e32 v8, v191, v8
	v_lshlrev_b32_e32 v16, 4, v109
	v_and_b32_e32 v107, 0xff, v8
	s_mov_b32 s18, 0xcccd
	v_lshlrev_b32_e32 v17, 4, v107
	global_load_dwordx4 v[12:15], v16, s[10:11]
	global_load_dwordx4 v[8:11], v17, s[10:11]
	v_mul_u32_u24_sdwa v16, v190, s18 dst_sel:DWORD dst_unused:UNUSED_PAD src0_sel:WORD_0 src1_sel:DWORD
	v_lshrrev_b32_e32 v92, 19, v16
	v_add_co_u32_e32 v186, vcc, 0x10e, v217
	v_mul_lo_u16_e32 v16, 10, v92
	v_mul_u32_u24_sdwa v20, v186, s18 dst_sel:DWORD dst_unused:UNUSED_PAD src0_sel:WORD_0 src1_sel:DWORD
	v_sub_u16_e32 v93, v190, v16
	v_lshrrev_b32_e32 v94, 19, v20
	v_lshlrev_b16_e32 v16, 1, v93
	v_mul_lo_u16_e32 v20, 10, v94
	v_lshlrev_b32_e32 v16, 3, v16
	s_mov_b64 s[4:5], vcc
	v_sub_u16_e32 v95, v186, v20
	v_add_co_u32_e32 v168, vcc, 0x168, v217
	v_add_u16_e32 v116, 0x276, v217
	global_load_dwordx4 v[16:19], v16, s[10:11]
	v_lshlrev_b16_e32 v20, 1, v95
	s_mov_b64 s[8:9], vcc
	v_mul_u32_u24_sdwa v24, v168, s18 dst_sel:DWORD dst_unused:UNUSED_PAD src0_sel:WORD_0 src1_sel:DWORD
	v_mul_u32_u24_e32 v32, 0xcccd, v116
	v_add_co_u32_e32 v112, vcc, 0x21c, v217
	v_lshlrev_b32_e32 v20, 3, v20
	global_load_dwordx4 v[20:23], v20, s[10:11]
	v_lshrrev_b32_e32 v97, 19, v24
	v_add_u16_e32 v104, 0x1c2, v217
	v_lshrrev_b32_e32 v101, 19, v32
	v_mul_u32_u24_sdwa v32, v112, s18 dst_sel:DWORD dst_unused:UNUSED_PAD src0_sel:WORD_0 src1_sel:DWORD
	v_mul_lo_u16_e32 v24, 10, v97
	v_mul_u32_u24_e32 v25, 0xcccd, v104
	v_lshrrev_b32_e32 v103, 19, v32
	v_sub_u16_e32 v98, v168, v24
	v_lshrrev_b32_e32 v99, 19, v25
	v_mul_lo_u16_e32 v32, 10, v103
	v_lshlrev_b16_e32 v24, 1, v98
	v_mul_lo_u16_e32 v25, 10, v99
	v_sub_u16_e32 v105, v112, v32
	v_lshlrev_b32_e32 v24, 3, v24
	v_sub_u16_e32 v100, v104, v25
	v_lshlrev_b16_e32 v32, 1, v105
	v_lshlrev_b16_e32 v25, 1, v100
	global_load_dwordx4 v[28:31], v24, s[10:11]
	v_lshlrev_b32_e32 v32, 3, v32
	global_load_dwordx4 v[32:35], v32, s[10:11]
	v_lshlrev_b32_e32 v24, 3, v25
	v_mul_lo_u16_e32 v36, 10, v101
	global_load_dwordx4 v[24:27], v24, s[10:11]
	v_sub_u16_e32 v102, v116, v36
	v_lshlrev_b16_e32 v36, 1, v102
	v_lshlrev_b32_e32 v36, 3, v36
	global_load_dwordx4 v[36:39], v36, s[10:11]
	v_add_u16_e32 v174, 0x2d0, v217
	v_addc_co_u32_e64 v187, s[4:5], 0, 0, s[4:5]
	v_addc_co_u32_e64 v169, s[4:5], 0, 0, s[8:9]
	s_waitcnt vmcnt(7) lgkmcnt(11)
	v_mul_f32_e32 v111, v84, v13
	s_waitcnt lgkmcnt(10)
	v_mul_f32_e32 v113, v89, v15
	s_waitcnt vmcnt(6)
	v_mul_f32_e32 v115, v87, v9
	v_mul_f32_e32 v110, v85, v13
	;; [unrolled: 1-line block ×4, first 2 shown]
	v_fmac_f32_e32 v111, v85, v12
	v_fma_f32 v85, v86, v8, -v115
	v_fma_f32 v86, v88, v14, -v113
	v_mul_f32_e32 v119, v90, v11
	v_fmac_f32_e32 v114, v89, v14
	v_mul_f32_e32 v118, v91, v11
	v_fmac_f32_e32 v119, v91, v10
	v_fmac_f32_e32 v117, v87, v8
	v_fma_f32 v87, v90, v10, -v118
	v_fma_f32 v84, v84, v12, -v110
	s_waitcnt vmcnt(5) lgkmcnt(8)
	v_mul_f32_e32 v121, v76, v17
	s_waitcnt lgkmcnt(7)
	v_mul_f32_e32 v122, v81, v19
	v_mul_f32_e32 v120, v77, v17
	v_fmac_f32_e32 v121, v77, v16
	v_fma_f32 v77, v80, v18, -v122
	v_mul_f32_e32 v80, v80, v19
	v_fmac_f32_e32 v80, v81, v18
	v_fma_f32 v76, v76, v16, -v120
	s_waitcnt vmcnt(4)
	v_mul_f32_e32 v81, v79, v21
	v_fma_f32 v81, v78, v20, -v81
	v_mul_f32_e32 v78, v78, v21
	v_fmac_f32_e32 v78, v79, v20
	v_mul_f32_e32 v79, v83, v23
	v_fma_f32 v79, v82, v22, -v79
	v_mul_f32_e32 v82, v82, v23
	v_fmac_f32_e32 v82, v83, v22
	s_waitcnt vmcnt(3) lgkmcnt(5)
	v_mul_f32_e32 v83, v69, v29
	v_fma_f32 v83, v68, v28, -v83
	v_mul_f32_e32 v88, v68, v29
	s_waitcnt lgkmcnt(4)
	v_mul_f32_e32 v68, v73, v31
	v_fma_f32 v89, v72, v30, -v68
	s_waitcnt vmcnt(1)
	v_mul_f32_e32 v68, v71, v25
	v_fma_f32 v91, v70, v24, -v68
	v_mul_f32_e32 v68, v75, v27
	v_fma_f32 v113, v74, v26, -v68
	s_waitcnt lgkmcnt(2)
	v_mul_f32_e32 v68, v65, v33
	v_fma_f32 v118, v64, v32, -v68
	v_mul_f32_e32 v120, v64, v33
	s_waitcnt vmcnt(0)
	v_mul_f32_e32 v64, v67, v37
	v_fma_f32 v122, v66, v36, -v64
	s_waitcnt lgkmcnt(0)
	v_mul_f32_e32 v64, v41, v35
	v_fma_f32 v124, v40, v34, -v64
	v_mul_f32_e32 v125, v40, v35
	v_mul_f32_e32 v40, v43, v39
	v_fma_f32 v126, v42, v38, -v40
	v_add_f32_e32 v40, v60, v84
	v_add_f32_e32 v64, v40, v86
	;; [unrolled: 1-line block ×3, first 2 shown]
	v_fmac_f32_e32 v120, v65, v32
	v_add_f32_e32 v65, v40, v114
	v_add_f32_e32 v40, v111, v114
	v_fma_f32 v61, -0.5, v40, v61
	v_mul_u32_u24_e32 v40, 30, v108
	v_mul_f32_e32 v110, v70, v25
	v_add_lshl_u32 v70, v40, v109, 3
	v_mul_u32_u24_e32 v40, 0xcccd, v174
	v_lshrrev_b32_e32 v40, 19, v40
	buffer_store_dword v40, off, s[20:23], 0 offset:120 ; 4-byte Folded Spill
	v_mul_lo_u16_e32 v40, 10, v40
	v_sub_u16_e32 v40, v174, v40
	buffer_store_dword v40, off, s[20:23], 0 offset:124 ; 4-byte Folded Spill
	v_lshlrev_b16_e32 v40, 1, v40
	v_fmac_f32_e32 v125, v41, v34
	v_mul_f32_e32 v127, v42, v39
	v_add_f32_e32 v41, v84, v86
	v_lshlrev_b32_e32 v40, 3, v40
	v_fmac_f32_e32 v127, v43, v38
	v_fma_f32 v60, -0.5, v41, v60
	global_load_dwordx4 v[40:43], v40, s[10:11]
	v_fmac_f32_e32 v88, v69, v28
	v_mul_f32_e32 v123, v66, v37
	v_sub_f32_e32 v68, v111, v114
	v_sub_f32_e32 v69, v84, v86
	v_fmac_f32_e32 v123, v67, v36
	v_mov_b32_e32 v66, v60
	v_mov_b32_e32 v67, v61
	v_fmac_f32_e32 v60, 0xbf5db3d7, v68
	v_fmac_f32_e32 v61, 0x3f5db3d7, v69
	s_waitcnt vmcnt(0)
	s_barrier
	ds_write_b64 v70, v[60:61] offset:160
	v_add_f32_e32 v60, v85, v87
	v_fmac_f32_e32 v66, 0x3f5db3d7, v68
	v_fmac_f32_e32 v67, 0xbf5db3d7, v69
	v_add_f32_e32 v61, v62, v85
	v_fma_f32 v62, -0.5, v60, v62
	ds_write2_b64 v70, v[64:65], v[66:67] offset1:10
	v_sub_f32_e32 v64, v117, v119
	v_mov_b32_e32 v60, v62
	v_fmac_f32_e32 v60, 0x3f5db3d7, v64
	v_fmac_f32_e32 v62, 0xbf5db3d7, v64
	v_add_f32_e32 v64, v61, v87
	v_add_f32_e32 v61, v63, v117
	;; [unrolled: 1-line block ×4, first 2 shown]
	v_fmac_f32_e32 v63, -0.5, v61
	v_sub_f32_e32 v66, v85, v87
	v_mov_b32_e32 v61, v63
	v_fmac_f32_e32 v61, 0xbf5db3d7, v66
	v_fmac_f32_e32 v63, 0x3f5db3d7, v66
	v_add_f32_e32 v66, v76, v77
	v_fma_f32 v66, -0.5, v66, v56
	v_add_f32_e32 v56, v56, v76
	buffer_store_dword v70, off, s[20:23], 0 offset:128 ; 4-byte Folded Spill
	v_add_f32_e32 v70, v56, v77
	v_add_f32_e32 v56, v57, v121
	v_fmac_f32_e32 v110, v71, v24
	v_sub_f32_e32 v67, v121, v80
	v_mov_b32_e32 v68, v66
	v_add_f32_e32 v71, v56, v80
	v_add_f32_e32 v56, v121, v80
	v_fmac_f32_e32 v68, 0x3f5db3d7, v67
	v_fmac_f32_e32 v66, 0xbf5db3d7, v67
	v_fma_f32 v67, -0.5, v56, v57
	v_sub_f32_e32 v56, v76, v77
	v_mov_b32_e32 v69, v67
	v_fmac_f32_e32 v69, 0xbf5db3d7, v56
	v_fmac_f32_e32 v67, 0x3f5db3d7, v56
	v_add_f32_e32 v56, v81, v79
	v_add_f32_e32 v57, v58, v81
	v_fma_f32 v58, -0.5, v56, v58
	v_mul_f32_e32 v90, v72, v31
	v_sub_f32_e32 v72, v78, v82
	v_mov_b32_e32 v56, v58
	v_fmac_f32_e32 v56, 0x3f5db3d7, v72
	v_fmac_f32_e32 v58, 0xbf5db3d7, v72
	v_add_f32_e32 v72, v57, v79
	v_add_f32_e32 v57, v59, v78
	v_fmac_f32_e32 v90, v73, v30
	v_add_f32_e32 v73, v57, v82
	v_add_f32_e32 v57, v78, v82
	v_fmac_f32_e32 v59, -0.5, v57
	v_mul_f32_e32 v115, v74, v27
	v_sub_f32_e32 v74, v81, v79
	v_mov_b32_e32 v57, v59
	v_fmac_f32_e32 v57, 0xbf5db3d7, v74
	v_fmac_f32_e32 v59, 0x3f5db3d7, v74
	v_mul_u32_u24_e32 v74, 30, v106
	v_add_lshl_u32 v84, v74, v107, 3
	ds_write2_b64 v84, v[64:65], v[60:61] offset1:10
	v_add_f32_e32 v60, v83, v89
	v_fma_f32 v60, -0.5, v60, v52
	v_add_f32_e32 v52, v52, v83
	v_add_f32_e32 v74, v52, v89
	;; [unrolled: 1-line block ×3, first 2 shown]
	v_fmac_f32_e32 v115, v75, v26
	v_sub_f32_e32 v61, v88, v90
	v_mov_b32_e32 v64, v60
	v_add_f32_e32 v75, v52, v90
	v_add_f32_e32 v52, v88, v90
	v_fmac_f32_e32 v64, 0x3f5db3d7, v61
	v_fmac_f32_e32 v60, 0xbf5db3d7, v61
	v_fma_f32 v61, -0.5, v52, v53
	v_sub_f32_e32 v52, v83, v89
	v_mov_b32_e32 v65, v61
	v_fmac_f32_e32 v65, 0xbf5db3d7, v52
	v_fmac_f32_e32 v61, 0x3f5db3d7, v52
	v_add_f32_e32 v52, v91, v113
	v_add_f32_e32 v53, v54, v91
	v_fma_f32 v54, -0.5, v52, v54
	v_sub_f32_e32 v76, v110, v115
	v_mov_b32_e32 v52, v54
	v_fmac_f32_e32 v52, 0x3f5db3d7, v76
	v_fmac_f32_e32 v54, 0xbf5db3d7, v76
	v_add_f32_e32 v76, v53, v113
	v_add_f32_e32 v53, v55, v110
	v_add_f32_e32 v77, v53, v115
	v_add_f32_e32 v53, v110, v115
	v_fmac_f32_e32 v55, -0.5, v53
	v_sub_f32_e32 v78, v91, v113
	v_mov_b32_e32 v53, v55
	v_fmac_f32_e32 v53, 0xbf5db3d7, v78
	v_fmac_f32_e32 v55, 0x3f5db3d7, v78
	v_add_f32_e32 v78, v118, v124
	v_fma_f32 v78, -0.5, v78, v48
	v_add_f32_e32 v48, v48, v118
	v_add_f32_e32 v82, v48, v124
	v_add_f32_e32 v48, v49, v120
	v_sub_f32_e32 v79, v120, v125
	v_mov_b32_e32 v80, v78
	v_add_f32_e32 v83, v48, v125
	v_add_f32_e32 v48, v120, v125
	v_fmac_f32_e32 v80, 0x3f5db3d7, v79
	v_fmac_f32_e32 v78, 0xbf5db3d7, v79
	v_fma_f32 v79, -0.5, v48, v49
	v_sub_f32_e32 v48, v118, v124
	v_mov_b32_e32 v81, v79
	v_add_f32_e32 v49, v122, v126
	v_fmac_f32_e32 v81, 0xbf5db3d7, v48
	v_fmac_f32_e32 v79, 0x3f5db3d7, v48
	v_add_f32_e32 v48, v50, v122
	v_fma_f32 v50, -0.5, v49, v50
	buffer_store_dword v84, off, s[20:23], 0 offset:132 ; 4-byte Folded Spill
	ds_write_b64 v84, v[62:63] offset:160
	v_sub_f32_e32 v49, v123, v127
	v_mov_b32_e32 v62, v50
	v_add_f32_e32 v84, v48, v126
	v_add_f32_e32 v48, v51, v123
	v_fmac_f32_e32 v62, 0x3f5db3d7, v49
	v_fmac_f32_e32 v50, 0xbf5db3d7, v49
	v_add_f32_e32 v85, v48, v127
	v_add_f32_e32 v49, v123, v127
	v_mul_f32_e32 v48, v47, v41
	v_fma_f32 v48, v46, v40, -v48
	v_fmac_f32_e32 v51, -0.5, v49
	v_mul_f32_e32 v46, v46, v41
	v_fmac_f32_e32 v46, v47, v40
	v_sub_f32_e32 v49, v122, v126
	v_mul_f32_e32 v47, v1, v43
	v_mov_b32_e32 v63, v51
	v_fma_f32 v47, v0, v42, -v47
	v_fmac_f32_e32 v63, 0xbf5db3d7, v49
	v_fmac_f32_e32 v51, 0x3f5db3d7, v49
	v_mul_f32_e32 v49, v0, v43
	v_mad_legacy_u16 v0, v92, 30, v93
	v_lshlrev_b32_e32 v86, 3, v0
	ds_write_b64 v86, v[66:67] offset:160
	v_mad_legacy_u16 v66, v94, 30, v95
	v_lshlrev_b32_e32 v66, 3, v66
	ds_write2_b64 v86, v[70:71], v[68:69] offset1:10
	ds_write2_b64 v66, v[72:73], v[56:57] offset1:10
	v_mad_legacy_u16 v56, v97, 30, v98
	v_fmac_f32_e32 v49, v1, v42
	v_add_f32_e32 v1, v48, v47
	v_lshlrev_b32_e32 v56, 3, v56
	v_fma_f32 v0, -0.5, v1, v44
	ds_write_b64 v66, v[58:59] offset:160
	ds_write2_b64 v56, v[74:75], v[64:65] offset1:10
	buffer_store_dword v56, off, s[20:23], 0 offset:144 ; 4-byte Folded Spill
	ds_write_b64 v56, v[60:61] offset:160
	v_mad_legacy_u16 v56, v99, 30, v100
	v_sub_f32_e32 v1, v46, v49
	v_mov_b32_e32 v170, v0
	v_lshlrev_b32_e32 v56, 3, v56
	v_fmac_f32_e32 v170, 0x3f5db3d7, v1
	v_fmac_f32_e32 v0, 0xbf5db3d7, v1
	v_add_f32_e32 v1, v46, v49
	ds_write2_b64 v56, v[76:77], v[52:53] offset1:10
	v_mad_legacy_u16 v52, v103, 30, v105
	v_fma_f32 v1, -0.5, v1, v45
	v_lshlrev_b32_e32 v52, 3, v52
	v_sub_f32_e32 v68, v48, v47
	v_mov_b32_e32 v171, v1
	ds_write_b64 v56, v[54:55] offset:160
	ds_write2_b64 v52, v[82:83], v[80:81] offset1:10
	buffer_store_dword v52, off, s[20:23], 0 offset:152 ; 4-byte Folded Spill
	ds_write_b64 v52, v[78:79] offset:160
	v_mad_legacy_u16 v52, v101, 30, v102
	v_fmac_f32_e32 v171, 0xbf5db3d7, v68
	v_fmac_f32_e32 v1, 0x3f5db3d7, v68
	v_lshlrev_b32_e32 v52, 3, v52
	buffer_store_dword v86, off, s[20:23], 0 offset:136 ; 4-byte Folded Spill
	buffer_store_dword v66, off, s[20:23], 0 offset:140 ; 4-byte Folded Spill
	;; [unrolled: 1-line block ×3, first 2 shown]
	ds_write2_b64 v52, v[84:85], v[62:63] offset1:10
	buffer_store_dword v52, off, s[20:23], 0 offset:156 ; 4-byte Folded Spill
	ds_write_b64 v52, v[50:51] offset:160
	s_and_saveexec_b64 s[4:5], s[2:3]
	s_cbranch_execz .LBB0_11
; %bb.10:
	v_add_f32_e32 v44, v44, v48
	v_add_f32_e32 v45, v45, v46
	;; [unrolled: 1-line block ×3, first 2 shown]
	buffer_load_dword v46, off, s[20:23], 0 offset:120 ; 4-byte Folded Reload
	buffer_load_dword v47, off, s[20:23], 0 offset:124 ; 4-byte Folded Reload
	v_add_f32_e32 v45, v45, v49
	s_waitcnt vmcnt(0)
	v_mad_legacy_u16 v46, v46, 30, v47
	v_lshlrev_b32_e32 v46, 3, v46
	ds_write2_b64 v46, v[44:45], v[170:171] offset1:10
	ds_write_b64 v46, v[0:1] offset:160
.LBB0_11:
	s_or_b64 exec, exec, s[4:5]
	s_movk_i32 s4, 0x89
	v_mul_lo_u16_sdwa v44, v217, s4 dst_sel:DWORD dst_unused:UNUSED_PAD src0_sel:BYTE_0 src1_sel:DWORD
	v_lshrrev_b16_e32 v99, 12, v44
	v_mul_lo_u16_e32 v44, 30, v99
	v_sub_u16_e32 v44, v217, v44
	v_and_b32_e32 v100, 0xff, v44
	v_lshlrev_b32_e32 v52, 5, v100
	s_waitcnt vmcnt(0) lgkmcnt(0)
	s_barrier
	global_load_dwordx4 v[48:51], v52, s[10:11] offset:160
	global_load_dwordx4 v[44:47], v52, s[10:11] offset:176
	v_mul_lo_u16_sdwa v52, v191, s4 dst_sel:DWORD dst_unused:UNUSED_PAD src0_sel:BYTE_0 src1_sel:DWORD
	v_lshrrev_b16_e32 v105, 12, v52
	v_mul_lo_u16_e32 v52, 30, v105
	s_mov_b32 s4, 0x8889
	v_sub_u16_e32 v52, v191, v52
	v_mul_u32_u24_sdwa v60, v190, s4 dst_sel:DWORD dst_unused:UNUSED_PAD src0_sel:WORD_0 src1_sel:DWORD
	v_and_b32_e32 v106, 0xff, v52
	v_lshrrev_b32_e32 v109, 20, v60
	v_lshlrev_b32_e32 v52, 5, v106
	v_mul_lo_u16_e32 v60, 30, v109
	global_load_dwordx4 v[56:59], v52, s[10:11] offset:160
	s_nop 0
	global_load_dwordx4 v[52:55], v52, s[10:11] offset:176
	v_sub_u16_e32 v111, v190, v60
	v_mul_u32_u24_sdwa v72, v186, s4 dst_sel:DWORD dst_unused:UNUSED_PAD src0_sel:WORD_0 src1_sel:DWORD
	v_lshlrev_b16_e32 v60, 5, v111
	v_lshrrev_b32_e32 v114, 20, v72
	v_mov_b32_e32 v80, s11
	v_add_co_u32_e32 v60, vcc, s10, v60
	v_mul_lo_u16_e32 v72, 30, v114
	v_addc_co_u32_e32 v61, vcc, 0, v80, vcc
	v_sub_u16_e32 v115, v186, v72
	global_load_dwordx4 v[68:71], v[60:61], off offset:160
	global_load_dwordx4 v[64:67], v[60:61], off offset:176
	v_lshlrev_b16_e32 v72, 5, v115
	v_mul_u32_u24_sdwa v81, v168, s4 dst_sel:DWORD dst_unused:UNUSED_PAD src0_sel:WORD_0 src1_sel:DWORD
	v_add_co_u32_e32 v76, vcc, s10, v72
	v_lshrrev_b32_e32 v118, 20, v81
	v_addc_co_u32_e32 v77, vcc, 0, v80, vcc
	v_mul_lo_u16_e32 v81, 30, v118
	ds_read2_b64 v[60:63], v216 offset1:90
	global_load_dwordx4 v[72:75], v[76:77], off offset:176
	s_nop 0
	global_load_dwordx4 v[76:79], v[76:77], off offset:160
	v_sub_u16_e32 v119, v168, v81
	v_lshlrev_b16_e32 v81, 5, v119
	v_add_co_u32_e32 v84, vcc, s10, v81
	v_addc_co_u32_e32 v85, vcc, 0, v80, vcc
	global_load_dwordx4 v[80:83], v[84:85], off offset:176
	s_nop 0
	global_load_dwordx4 v[84:87], v[84:85], off offset:160
	v_add_u32_e32 v92, 0x2400, v216
	v_add_u32_e32 v97, 0x800, v216
	;; [unrolled: 1-line block ×11, first 2 shown]
	ds_read_b64 v[156:157], v216 offset:17280
	ds_read2_b64 v[88:91], v97 offset0:104 offset1:194
	ds_read2_b64 v[120:123], v98 offset0:132 offset1:222
	ds_read2_b64 v[124:127], v92 offset0:108 offset1:198
	ds_read2_b64 v[128:131], v103 offset0:8 offset1:98
	ds_read2_b64 v[132:135], v102 offset0:28 offset1:118
	ds_read2_b64 v[136:139], v101 offset0:160 offset1:250
	ds_read2_b64 v[92:95], v108 offset0:52 offset1:142
	ds_read2_b64 v[140:143], v107 offset0:56 offset1:146
	ds_read2_b64 v[144:147], v110 offset0:60 offset1:150
	ds_read2_b64 v[148:151], v117 offset0:80 offset1:170
	ds_read2_b64 v[152:155], v113 offset0:84 offset1:174
	v_mul_u32_u24_e32 v99, 0x96, v99
	v_add_lshl_u32 v99, v99, v100, 3
	s_waitcnt vmcnt(0) lgkmcnt(0)
	s_barrier
	s_movk_i32 s4, 0x96
	v_mul_f32_e32 v158, v91, v49
	v_mul_f32_e32 v162, v127, v45
	;; [unrolled: 1-line block ×3, first 2 shown]
	v_fma_f32 v158, v90, v48, -v158
	v_fma_f32 v162, v126, v44, -v162
	v_mul_f32_e32 v126, v126, v45
	v_mul_f32_e32 v90, v129, v47
	v_fmac_f32_e32 v126, v127, v44
	v_fma_f32 v127, v128, v46, -v90
	v_mul_f32_e32 v160, v121, v51
	v_fma_f32 v160, v120, v50, -v160
	v_mul_f32_e32 v90, v133, v57
	v_fma_f32 v163, v132, v56, -v90
	v_mul_f32_e32 v164, v132, v57
	v_mul_f32_e32 v90, v123, v59
	v_fmac_f32_e32 v164, v133, v56
	v_fma_f32 v133, v122, v58, -v90
	v_mul_f32_e32 v90, v137, v53
	v_fma_f32 v166, v136, v52, -v90
	v_mul_f32_e32 v136, v136, v53
	v_mul_f32_e32 v90, v131, v55
	v_fmac_f32_e32 v136, v137, v52
	v_fma_f32 v137, v130, v54, -v90
	v_mul_f32_e32 v90, v135, v69
	v_fma_f32 v172, v134, v68, -v90
	v_mul_f32_e32 v90, v141, v71
	;; [unrolled: 2-line block ×3, first 2 shown]
	v_mul_f32_e32 v90, v139, v65
	v_fmac_f32_e32 v176, v141, v70
	v_fma_f32 v141, v138, v64, -v90
	v_mul_f32_e32 v177, v138, v65
	v_mul_f32_e32 v90, v145, v67
	v_fmac_f32_e32 v177, v139, v64
	v_fma_f32 v139, v144, v66, -v90
	v_mul_f32_e32 v90, v149, v77
	v_fma_f32 v178, v148, v76, -v90
	v_mul_f32_e32 v179, v148, v77
	v_mul_f32_e32 v90, v143, v79
	v_fmac_f32_e32 v179, v149, v76
	v_fma_f32 v149, v142, v78, -v90
	v_mul_f32_e32 v90, v153, v73
	v_fmac_f32_e32 v159, v91, v48
	v_mul_f32_e32 v128, v128, v47
	v_fma_f32 v181, v152, v72, -v90
	v_mul_f32_e32 v152, v152, v73
	v_mul_f32_e32 v90, v147, v75
	v_add_f32_e32 v91, v160, v162
	v_mul_f32_e32 v161, v120, v51
	v_fmac_f32_e32 v128, v129, v46
	v_fmac_f32_e32 v152, v153, v72
	v_fma_f32 v153, v146, v74, -v90
	v_mul_f32_e32 v90, v151, v85
	v_fma_f32 v120, -0.5, v91, v60
	v_fmac_f32_e32 v161, v121, v50
	v_mul_f32_e32 v165, v122, v59
	v_fma_f32 v183, v150, v84, -v90
	v_mul_f32_e32 v90, v125, v87
	v_sub_f32_e32 v91, v159, v128
	v_mov_b32_e32 v122, v120
	v_fmac_f32_e32 v165, v123, v58
	v_fma_f32 v185, v124, v86, -v90
	v_mul_f32_e32 v188, v124, v87
	v_fmac_f32_e32 v122, 0x3f737871, v91
	v_sub_f32_e32 v121, v161, v126
	v_sub_f32_e32 v123, v158, v160
	;; [unrolled: 1-line block ×3, first 2 shown]
	v_fmac_f32_e32 v120, 0xbf737871, v91
	v_mul_f32_e32 v90, v155, v81
	v_fmac_f32_e32 v122, 0x3f167918, v121
	v_add_f32_e32 v123, v123, v124
	v_fmac_f32_e32 v120, 0xbf167918, v121
	v_fma_f32 v189, v154, v80, -v90
	v_mul_f32_e32 v192, v154, v81
	v_mul_f32_e32 v90, v157, v83
	v_fmac_f32_e32 v122, 0x3e9e377a, v123
	v_fmac_f32_e32 v120, 0x3e9e377a, v123
	v_add_f32_e32 v123, v158, v127
	v_fmac_f32_e32 v192, v155, v80
	v_fma_f32 v155, v156, v82, -v90
	v_add_f32_e32 v90, v60, v158
	v_fma_f32 v60, -0.5, v123, v60
	v_mov_b32_e32 v124, v60
	v_fmac_f32_e32 v188, v125, v86
	v_add_f32_e32 v90, v90, v160
	v_fmac_f32_e32 v124, 0xbf737871, v121
	v_sub_f32_e32 v123, v160, v158
	v_sub_f32_e32 v125, v162, v127
	v_fmac_f32_e32 v60, 0x3f737871, v121
	v_add_f32_e32 v121, v161, v126
	v_add_f32_e32 v90, v90, v162
	v_fmac_f32_e32 v124, 0x3f167918, v91
	v_add_f32_e32 v123, v123, v125
	v_fmac_f32_e32 v60, 0xbf167918, v91
	v_fma_f32 v121, -0.5, v121, v61
	v_add_f32_e32 v90, v90, v127
	v_fmac_f32_e32 v124, 0x3e9e377a, v123
	v_fmac_f32_e32 v60, 0x3e9e377a, v123
	v_sub_f32_e32 v127, v158, v127
	v_mov_b32_e32 v123, v121
	v_mul_f32_e32 v167, v130, v55
	v_fmac_f32_e32 v123, 0xbf737871, v127
	v_sub_f32_e32 v129, v160, v162
	v_sub_f32_e32 v125, v159, v161
	;; [unrolled: 1-line block ×3, first 2 shown]
	v_fmac_f32_e32 v121, 0x3f737871, v127
	v_fmac_f32_e32 v123, 0xbf167918, v129
	v_add_f32_e32 v125, v125, v130
	v_fmac_f32_e32 v121, 0x3f167918, v129
	v_fmac_f32_e32 v123, 0x3e9e377a, v125
	;; [unrolled: 1-line block ×3, first 2 shown]
	v_add_f32_e32 v125, v159, v128
	v_add_f32_e32 v91, v61, v159
	v_fma_f32 v61, -0.5, v125, v61
	v_mov_b32_e32 v125, v61
	v_add_f32_e32 v91, v91, v161
	v_fmac_f32_e32 v125, 0x3f737871, v129
	v_fmac_f32_e32 v61, 0xbf737871, v129
	v_add_f32_e32 v91, v91, v126
	v_fmac_f32_e32 v125, 0xbf167918, v127
	v_fmac_f32_e32 v61, 0x3f167918, v127
	v_add_f32_e32 v127, v133, v166
	v_fmac_f32_e32 v167, v131, v54
	v_add_f32_e32 v91, v91, v128
	v_sub_f32_e32 v130, v161, v159
	v_sub_f32_e32 v126, v126, v128
	v_fma_f32 v128, -0.5, v127, v62
	v_add_f32_e32 v126, v130, v126
	v_sub_f32_e32 v127, v164, v167
	v_mov_b32_e32 v130, v128
	v_fmac_f32_e32 v130, 0x3f737871, v127
	v_sub_f32_e32 v129, v165, v136
	v_sub_f32_e32 v131, v163, v133
	;; [unrolled: 1-line block ×3, first 2 shown]
	v_fmac_f32_e32 v128, 0xbf737871, v127
	v_fmac_f32_e32 v130, 0x3f167918, v129
	v_add_f32_e32 v131, v131, v132
	v_fmac_f32_e32 v128, 0xbf167918, v129
	v_fmac_f32_e32 v130, 0x3e9e377a, v131
	;; [unrolled: 1-line block ×3, first 2 shown]
	v_add_f32_e32 v131, v163, v137
	v_fmac_f32_e32 v125, 0x3e9e377a, v126
	v_fmac_f32_e32 v61, 0x3e9e377a, v126
	v_add_f32_e32 v126, v62, v163
	v_fma_f32 v62, -0.5, v131, v62
	v_mov_b32_e32 v132, v62
	v_mul_f32_e32 v173, v134, v69
	v_fmac_f32_e32 v132, 0xbf737871, v129
	v_sub_f32_e32 v131, v133, v163
	v_sub_f32_e32 v134, v166, v137
	v_fmac_f32_e32 v62, 0x3f737871, v129
	v_add_f32_e32 v129, v165, v136
	v_add_f32_e32 v126, v126, v133
	v_fmac_f32_e32 v132, 0x3f167918, v127
	v_add_f32_e32 v131, v131, v134
	v_fmac_f32_e32 v62, 0xbf167918, v127
	v_fma_f32 v129, -0.5, v129, v63
	v_add_f32_e32 v126, v126, v166
	v_fmac_f32_e32 v132, 0x3e9e377a, v131
	v_fmac_f32_e32 v62, 0x3e9e377a, v131
	v_sub_f32_e32 v134, v163, v137
	v_mov_b32_e32 v131, v129
	v_fmac_f32_e32 v173, v135, v68
	v_add_f32_e32 v126, v126, v137
	v_fmac_f32_e32 v131, 0xbf737871, v134
	v_sub_f32_e32 v135, v133, v166
	v_sub_f32_e32 v133, v164, v165
	;; [unrolled: 1-line block ×3, first 2 shown]
	v_fmac_f32_e32 v129, 0x3f737871, v134
	v_fmac_f32_e32 v131, 0xbf167918, v135
	v_add_f32_e32 v133, v133, v137
	v_fmac_f32_e32 v129, 0x3f167918, v135
	v_fmac_f32_e32 v131, 0x3e9e377a, v133
	;; [unrolled: 1-line block ×3, first 2 shown]
	v_add_f32_e32 v133, v164, v167
	v_add_f32_e32 v127, v63, v164
	v_fmac_f32_e32 v63, -0.5, v133
	v_add_f32_e32 v127, v127, v165
	v_mov_b32_e32 v133, v63
	v_add_f32_e32 v127, v127, v136
	v_fmac_f32_e32 v133, 0x3f737871, v135
	v_sub_f32_e32 v137, v165, v164
	v_sub_f32_e32 v136, v136, v167
	v_fmac_f32_e32 v63, 0xbf737871, v135
	v_mul_f32_e32 v144, v144, v67
	v_fmac_f32_e32 v133, 0xbf167918, v134
	v_add_f32_e32 v136, v137, v136
	v_fmac_f32_e32 v63, 0x3f167918, v134
	v_add_f32_e32 v135, v175, v141
	v_fmac_f32_e32 v144, v145, v66
	v_fmac_f32_e32 v133, 0x3e9e377a, v136
	;; [unrolled: 1-line block ×3, first 2 shown]
	v_fma_f32 v136, -0.5, v135, v92
	v_sub_f32_e32 v135, v173, v144
	v_mov_b32_e32 v138, v136
	v_mul_f32_e32 v180, v142, v79
	v_fmac_f32_e32 v138, 0x3f737871, v135
	v_sub_f32_e32 v137, v176, v177
	v_sub_f32_e32 v140, v172, v175
	;; [unrolled: 1-line block ×3, first 2 shown]
	v_fmac_f32_e32 v136, 0xbf737871, v135
	v_fmac_f32_e32 v138, 0x3f167918, v137
	v_add_f32_e32 v140, v140, v142
	v_fmac_f32_e32 v136, 0xbf167918, v137
	v_fmac_f32_e32 v138, 0x3e9e377a, v140
	;; [unrolled: 1-line block ×3, first 2 shown]
	v_add_f32_e32 v140, v172, v139
	v_add_f32_e32 v134, v92, v172
	v_fma_f32 v92, -0.5, v140, v92
	v_mov_b32_e32 v140, v92
	v_fmac_f32_e32 v180, v143, v78
	v_add_f32_e32 v134, v134, v175
	v_fmac_f32_e32 v140, 0xbf737871, v137
	v_sub_f32_e32 v142, v175, v172
	v_sub_f32_e32 v143, v141, v139
	v_fmac_f32_e32 v92, 0x3f737871, v137
	v_add_f32_e32 v137, v176, v177
	v_add_f32_e32 v134, v134, v141
	v_fmac_f32_e32 v140, 0x3f167918, v135
	v_add_f32_e32 v142, v142, v143
	v_fmac_f32_e32 v92, 0xbf167918, v135
	v_fma_f32 v137, -0.5, v137, v93
	v_add_f32_e32 v134, v134, v139
	v_fmac_f32_e32 v140, 0x3e9e377a, v142
	v_fmac_f32_e32 v92, 0x3e9e377a, v142
	v_sub_f32_e32 v142, v172, v139
	v_mov_b32_e32 v139, v137
	v_fmac_f32_e32 v139, 0xbf737871, v142
	v_sub_f32_e32 v143, v175, v141
	v_sub_f32_e32 v141, v173, v176
	;; [unrolled: 1-line block ×3, first 2 shown]
	v_fmac_f32_e32 v137, 0x3f737871, v142
	v_fmac_f32_e32 v139, 0xbf167918, v143
	v_add_f32_e32 v141, v141, v145
	v_fmac_f32_e32 v137, 0x3f167918, v143
	v_add_f32_e32 v135, v93, v173
	v_fmac_f32_e32 v139, 0x3e9e377a, v141
	v_fmac_f32_e32 v137, 0x3e9e377a, v141
	v_add_f32_e32 v141, v173, v144
	v_add_f32_e32 v135, v135, v176
	v_fma_f32 v93, -0.5, v141, v93
	v_add_f32_e32 v135, v135, v177
	v_mov_b32_e32 v141, v93
	v_add_f32_e32 v135, v135, v144
	v_fmac_f32_e32 v141, 0x3f737871, v143
	v_sub_f32_e32 v145, v176, v173
	v_sub_f32_e32 v144, v177, v144
	v_fmac_f32_e32 v93, 0xbf737871, v143
	v_mul_f32_e32 v182, v146, v75
	v_fmac_f32_e32 v141, 0xbf167918, v142
	v_add_f32_e32 v144, v145, v144
	v_fmac_f32_e32 v93, 0x3f167918, v142
	v_add_f32_e32 v143, v149, v181
	v_fmac_f32_e32 v182, v147, v74
	v_fmac_f32_e32 v141, 0x3e9e377a, v144
	;; [unrolled: 1-line block ×3, first 2 shown]
	v_fma_f32 v144, -0.5, v143, v94
	v_sub_f32_e32 v143, v179, v182
	v_mov_b32_e32 v146, v144
	v_fmac_f32_e32 v146, 0x3f737871, v143
	v_sub_f32_e32 v145, v180, v152
	v_sub_f32_e32 v147, v178, v149
	;; [unrolled: 1-line block ×3, first 2 shown]
	v_fmac_f32_e32 v144, 0xbf737871, v143
	v_fmac_f32_e32 v146, 0x3f167918, v145
	v_add_f32_e32 v147, v147, v148
	v_fmac_f32_e32 v144, 0xbf167918, v145
	v_fmac_f32_e32 v146, 0x3e9e377a, v147
	;; [unrolled: 1-line block ×3, first 2 shown]
	v_add_f32_e32 v147, v178, v153
	v_add_f32_e32 v142, v94, v178
	v_fma_f32 v94, -0.5, v147, v94
	v_mov_b32_e32 v148, v94
	v_mul_f32_e32 v184, v150, v85
	v_fmac_f32_e32 v148, 0xbf737871, v145
	v_sub_f32_e32 v147, v149, v178
	v_sub_f32_e32 v150, v181, v153
	v_fmac_f32_e32 v94, 0x3f737871, v145
	v_add_f32_e32 v145, v180, v152
	v_add_f32_e32 v142, v142, v149
	v_fmac_f32_e32 v148, 0x3f167918, v143
	v_add_f32_e32 v147, v147, v150
	v_fmac_f32_e32 v94, 0xbf167918, v143
	v_fma_f32 v145, -0.5, v145, v95
	v_add_f32_e32 v142, v142, v181
	v_fmac_f32_e32 v148, 0x3e9e377a, v147
	v_fmac_f32_e32 v94, 0x3e9e377a, v147
	v_sub_f32_e32 v150, v178, v153
	v_mov_b32_e32 v147, v145
	v_fmac_f32_e32 v184, v151, v84
	v_add_f32_e32 v142, v142, v153
	v_fmac_f32_e32 v147, 0xbf737871, v150
	v_sub_f32_e32 v151, v149, v181
	v_sub_f32_e32 v149, v179, v180
	;; [unrolled: 1-line block ×3, first 2 shown]
	v_fmac_f32_e32 v145, 0x3f737871, v150
	v_fmac_f32_e32 v147, 0xbf167918, v151
	v_add_f32_e32 v149, v149, v153
	v_fmac_f32_e32 v145, 0x3f167918, v151
	v_fmac_f32_e32 v147, 0x3e9e377a, v149
	;; [unrolled: 1-line block ×3, first 2 shown]
	v_add_f32_e32 v149, v179, v182
	v_add_f32_e32 v143, v95, v179
	v_fmac_f32_e32 v95, -0.5, v149
	v_add_f32_e32 v143, v143, v180
	v_mov_b32_e32 v149, v95
	v_mul_f32_e32 v156, v156, v83
	v_add_f32_e32 v143, v143, v152
	v_fmac_f32_e32 v149, 0x3f737871, v151
	v_sub_f32_e32 v153, v180, v179
	v_sub_f32_e32 v152, v152, v182
	v_fmac_f32_e32 v95, 0xbf737871, v151
	v_add_f32_e32 v151, v185, v189
	v_fmac_f32_e32 v156, v157, v82
	v_fmac_f32_e32 v149, 0xbf167918, v150
	v_add_f32_e32 v152, v153, v152
	v_fmac_f32_e32 v95, 0x3f167918, v150
	v_fma_f32 v172, -0.5, v151, v88
	v_fmac_f32_e32 v149, 0x3e9e377a, v152
	v_fmac_f32_e32 v95, 0x3e9e377a, v152
	v_sub_f32_e32 v151, v184, v156
	v_mov_b32_e32 v152, v172
	v_fmac_f32_e32 v152, 0x3f737871, v151
	v_sub_f32_e32 v153, v188, v192
	v_sub_f32_e32 v154, v183, v185
	;; [unrolled: 1-line block ×3, first 2 shown]
	v_fmac_f32_e32 v172, 0xbf737871, v151
	v_fmac_f32_e32 v152, 0x3f167918, v153
	v_add_f32_e32 v154, v154, v157
	v_fmac_f32_e32 v172, 0xbf167918, v153
	v_fmac_f32_e32 v152, 0x3e9e377a, v154
	;; [unrolled: 1-line block ×3, first 2 shown]
	v_add_f32_e32 v154, v183, v155
	v_add_f32_e32 v150, v88, v183
	v_fma_f32 v88, -0.5, v154, v88
	v_mov_b32_e32 v154, v88
	v_fmac_f32_e32 v154, 0xbf737871, v153
	v_sub_f32_e32 v157, v185, v183
	v_sub_f32_e32 v158, v189, v155
	v_fmac_f32_e32 v88, 0x3f737871, v153
	v_add_f32_e32 v153, v188, v192
	v_add_f32_e32 v150, v150, v185
	v_fmac_f32_e32 v154, 0x3f167918, v151
	v_add_f32_e32 v157, v157, v158
	v_fmac_f32_e32 v88, 0xbf167918, v151
	v_fma_f32 v173, -0.5, v153, v89
	v_add_f32_e32 v150, v150, v189
	v_fmac_f32_e32 v154, 0x3e9e377a, v157
	v_fmac_f32_e32 v88, 0x3e9e377a, v157
	v_sub_f32_e32 v157, v183, v155
	v_mov_b32_e32 v153, v173
	ds_write2_b64 v99, v[90:91], v[122:123] offset1:30
	ds_write2_b64 v99, v[124:125], v[60:61] offset0:60 offset1:90
	v_mul_u32_u24_e32 v60, 0x96, v105
	v_add_f32_e32 v127, v127, v167
	v_add_f32_e32 v150, v150, v155
	v_fmac_f32_e32 v153, 0xbf737871, v157
	v_sub_f32_e32 v158, v185, v189
	v_sub_f32_e32 v155, v184, v188
	v_sub_f32_e32 v159, v156, v192
	v_fmac_f32_e32 v173, 0x3f737871, v157
	v_add_lshl_u32 v60, v60, v106, 3
	v_fmac_f32_e32 v153, 0xbf167918, v158
	v_add_f32_e32 v155, v155, v159
	v_fmac_f32_e32 v173, 0x3f167918, v158
	buffer_store_dword v99, off, s[20:23], 0 offset:160 ; 4-byte Folded Spill
	ds_write_b64 v99, v[120:121] offset:960
	ds_write2_b64 v60, v[126:127], v[130:131] offset1:30
	ds_write2_b64 v60, v[132:133], v[62:63] offset0:60 offset1:90
	buffer_store_dword v60, off, s[20:23], 0 offset:164 ; 4-byte Folded Spill
	ds_write_b64 v60, v[128:129] offset:960
	v_mad_legacy_u16 v60, v109, s4, v111
	v_add_f32_e32 v151, v89, v184
	v_fmac_f32_e32 v153, 0x3e9e377a, v155
	v_fmac_f32_e32 v173, 0x3e9e377a, v155
	v_add_f32_e32 v155, v184, v156
	v_lshlrev_b32_e32 v60, 3, v60
	v_add_f32_e32 v151, v151, v188
	v_fmac_f32_e32 v89, -0.5, v155
	ds_write2_b64 v60, v[134:135], v[138:139] offset1:30
	ds_write2_b64 v60, v[140:141], v[92:93] offset0:60 offset1:90
	buffer_store_dword v60, off, s[20:23], 0 offset:168 ; 4-byte Folded Spill
	ds_write_b64 v60, v[136:137] offset:960
	v_mad_legacy_u16 v60, v114, s4, v115
	v_add_f32_e32 v143, v143, v182
	v_add_f32_e32 v151, v151, v192
	v_mov_b32_e32 v155, v89
	v_lshlrev_b32_e32 v60, 3, v60
	v_add_f32_e32 v151, v151, v156
	v_fmac_f32_e32 v155, 0x3f737871, v158
	v_sub_f32_e32 v159, v188, v184
	v_sub_f32_e32 v156, v192, v156
	v_fmac_f32_e32 v89, 0xbf737871, v158
	ds_write2_b64 v60, v[142:143], v[146:147] offset1:30
	ds_write2_b64 v60, v[148:149], v[94:95] offset0:60 offset1:90
	buffer_store_dword v60, off, s[20:23], 0 offset:172 ; 4-byte Folded Spill
	ds_write_b64 v60, v[144:145] offset:960
	v_mad_legacy_u16 v60, v118, s4, v119
	v_fmac_f32_e32 v155, 0xbf167918, v157
	v_add_f32_e32 v156, v159, v156
	v_fmac_f32_e32 v89, 0x3f167918, v157
	v_lshlrev_b32_e32 v60, 3, v60
	v_fmac_f32_e32 v155, 0x3e9e377a, v156
	v_fmac_f32_e32 v89, 0x3e9e377a, v156
	ds_write2_b64 v60, v[150:151], v[152:153] offset1:30
	ds_write2_b64 v60, v[154:155], v[88:89] offset0:60 offset1:90
	buffer_store_dword v60, off, s[20:23], 0 offset:176 ; 4-byte Folded Spill
	ds_write_b64 v60, v[172:173] offset:960
	v_add_u32_e32 v60, 0x2c00, v216
	s_waitcnt vmcnt(0) lgkmcnt(0)
	s_barrier
	ds_read2_b64 v[132:135], v216 offset1:90
	ds_read2_b64 v[160:163], v117 offset0:110 offset1:200
	ds_read2_b64 v[164:167], v60 offset0:92 offset1:182
	;; [unrolled: 1-line block ×11, first 2 shown]
	s_and_saveexec_b64 s[4:5], s[2:3]
	s_cbranch_execz .LBB0_13
; %bb.12:
	ds_read_b64 v[172:173], v216 offset:5760
	ds_read_b64 v[170:171], v216 offset:11760
	;; [unrolled: 1-line block ×3, first 2 shown]
.LBB0_13:
	s_or_b64 exec, exec, s[4:5]
	s_movk_i32 s4, 0xffc4
	v_lshlrev_b32_e32 v62, 4, v217
	v_add_co_u32_e32 v60, vcc, s4, v217
	v_addc_co_u32_e64 v61, s[4:5], 0, -1, vcc
	v_cmp_gt_u16_e32 vcc, 60, v217
	global_load_dwordx4 v[92:95], v62, s[10:11] offset:1120
	global_load_dwordx4 v[88:91], v62, s[10:11] offset:1600
	v_lshrrev_b16_e32 v62, 1, v186
	v_cndmask_b32_e32 v176, v61, v96, vcc
	v_cndmask_b32_e32 v175, v60, v191, vcc
	v_mul_u32_u24_e32 v62, 0xda75, v62
	v_lshlrev_b64 v[60:61], 4, v[175:176]
	v_lshrrev_b32_e32 v180, 22, v62
	v_mul_lo_u16_e32 v62, 0x96, v180
	v_mov_b32_e32 v176, s11
	v_add_co_u32_e32 v60, vcc, s10, v60
	v_sub_u16_e32 v181, v186, v62
	v_addc_co_u32_e32 v61, vcc, v176, v61, vcc
	v_lshlrev_b16_e32 v62, 4, v181
	v_add_co_u32_e32 v62, vcc, s10, v62
	v_addc_co_u32_e32 v63, vcc, 0, v176, vcc
	global_load_dwordx4 v[100:103], v[60:61], off offset:1120
	global_load_dwordx4 v[96:99], v[62:63], off offset:1120
	v_lshrrev_b16_e32 v60, 1, v168
	v_mul_u32_u24_e32 v60, 0xda75, v60
	v_lshrrev_b32_e32 v60, 22, v60
	v_lshrrev_b16_e32 v62, 1, v104
	v_mul_lo_u16_e32 v60, 0x96, v60
	v_mul_u32_u24_e32 v62, 0xda75, v62
	v_sub_u16_e32 v182, v168, v60
	v_lshrrev_b32_e32 v62, 22, v62
	v_lshlrev_b16_e32 v60, 4, v182
	v_mul_lo_u16_e32 v62, 0x96, v62
	v_add_co_u32_e32 v60, vcc, s10, v60
	v_sub_u16_e32 v183, v104, v62
	v_addc_co_u32_e32 v61, vcc, 0, v176, vcc
	v_lshlrev_b16_e32 v62, 4, v183
	v_add_co_u32_e32 v62, vcc, s10, v62
	v_addc_co_u32_e32 v63, vcc, 0, v176, vcc
	global_load_dwordx4 v[108:111], v[60:61], off offset:1120
	global_load_dwordx4 v[104:107], v[62:63], off offset:1120
	v_lshrrev_b16_e32 v60, 1, v112
	v_mul_u32_u24_e32 v60, 0xda75, v60
	v_lshrrev_b32_e32 v184, 22, v60
	v_mul_lo_u16_e32 v60, 0x96, v184
	v_sub_u16_e32 v185, v112, v60
	v_lshlrev_b16_e32 v60, 4, v185
	v_add_co_u32_e32 v60, vcc, s10, v60
	v_addc_co_u32_e32 v61, vcc, 0, v176, vcc
	global_load_dwordx4 v[112:115], v[60:61], off offset:1120
	v_lshrrev_b16_e32 v60, 1, v116
	v_mul_u32_u24_e32 v60, 0xda75, v60
	v_lshrrev_b32_e32 v60, 22, v60
	v_mul_lo_u16_e32 v60, 0x96, v60
	v_sub_u16_e32 v188, v116, v60
	v_lshlrev_b16_e32 v60, 4, v188
	v_add_co_u32_e32 v60, vcc, s10, v60
	v_addc_co_u32_e32 v61, vcc, 0, v176, vcc
	;; [unrolled: 9-line block ×3, first 2 shown]
	global_load_dwordx4 v[60:63], v[60:61], off offset:1120
	s_waitcnt vmcnt(0) lgkmcnt(0)
	s_barrier
	v_cmp_lt_u16_e32 vcc, 59, v217
	s_movk_i32 s4, 0x1c2
	v_mul_f32_e32 v176, v161, v93
	v_fma_f32 v176, v160, v92, -v176
	v_mul_f32_e32 v160, v160, v93
	v_fmac_f32_e32 v160, v161, v92
	v_mul_f32_e32 v161, v165, v95
	v_fma_f32 v161, v164, v94, -v161
	v_mul_f32_e32 v164, v164, v95
	v_fmac_f32_e32 v164, v165, v94
	;; [unrolled: 4-line block ×6, first 2 shown]
	v_mul_f32_e32 v153, v159, v97
	v_fma_f32 v177, v158, v96, -v153
	v_mul_f32_e32 v158, v158, v97
	v_mul_f32_e32 v153, v155, v99
	v_fmac_f32_e32 v158, v159, v96
	v_fma_f32 v159, v154, v98, -v153
	v_mul_f32_e32 v153, v149, v109
	v_fma_f32 v179, v148, v108, -v153
	v_mul_f32_e32 v189, v148, v109
	v_mul_f32_e32 v148, v145, v111
	v_fma_f32 v192, v144, v110, -v148
	v_mul_f32_e32 v193, v144, v111
	;; [unrolled: 3-line block ×3, first 2 shown]
	v_fma_f32 v196, v146, v106, -v144
	v_mul_f32_e32 v197, v146, v107
	v_mul_f32_e32 v144, v141, v113
	v_fma_f32 v198, v140, v112, -v144
	v_mul_f32_e32 v199, v140, v113
	v_mul_f32_e32 v140, v137, v115
	v_fma_f32 v200, v136, v114, -v140
	v_mul_f32_e32 v201, v136, v115
	v_fmac_f32_e32 v199, v141, v112
	v_fmac_f32_e32 v193, v145, v110
	;; [unrolled: 1-line block ×3, first 2 shown]
	v_mul_f32_e32 v195, v150, v105
	v_fmac_f32_e32 v189, v149, v108
	v_mul_f32_e32 v136, v143, v117
	v_fma_f32 v202, v142, v116, -v136
	v_mul_f32_e32 v136, v139, v119
	v_fma_f32 v204, v138, v118, -v136
	v_mul_f32_e32 v205, v138, v119
	v_fmac_f32_e32 v205, v139, v118
	v_mul_f32_e32 v203, v142, v117
	v_fmac_f32_e32 v203, v143, v116
	v_fmac_f32_e32 v195, v151, v104
	v_mul_f32_e32 v178, v154, v99
	v_fmac_f32_e32 v178, v155, v98
	v_mul_f32_e32 v138, v1, v63
	v_fma_f32 v138, v0, v62, -v138
	v_mul_f32_e32 v139, v0, v63
	v_add_f32_e32 v0, v132, v176
	v_add_f32_e32 v140, v0, v161
	v_add_f32_e32 v0, v176, v161
	v_fma_f32 v132, -0.5, v0, v132
	v_sub_f32_e32 v0, v160, v164
	v_mov_b32_e32 v142, v132
	v_fmac_f32_e32 v142, 0x3f5db3d7, v0
	v_fmac_f32_e32 v132, 0xbf5db3d7, v0
	v_add_f32_e32 v0, v133, v160
	v_add_f32_e32 v141, v0, v164
	v_add_f32_e32 v0, v160, v164
	v_fma_f32 v133, -0.5, v0, v133
	v_sub_f32_e32 v0, v176, v161
	v_mov_b32_e32 v143, v133
	v_fmac_f32_e32 v143, 0xbf5db3d7, v0
	v_fmac_f32_e32 v133, 0x3f5db3d7, v0
	v_add_f32_e32 v0, v134, v165
	v_add_f32_e32 v144, v0, v163
	v_add_f32_e32 v0, v165, v163
	v_fma_f32 v134, -0.5, v0, v134
	v_sub_f32_e32 v0, v162, v166
	v_mov_b32_e32 v146, v134
	v_fmac_f32_e32 v146, 0x3f5db3d7, v0
	v_fmac_f32_e32 v134, 0xbf5db3d7, v0
	v_add_f32_e32 v0, v135, v162
	v_add_f32_e32 v145, v0, v166
	v_add_f32_e32 v0, v162, v166
	v_fmac_f32_e32 v135, -0.5, v0
	v_sub_f32_e32 v0, v165, v163
	v_mov_b32_e32 v147, v135
	v_fmac_f32_e32 v147, 0xbf5db3d7, v0
	v_fmac_f32_e32 v135, 0x3f5db3d7, v0
	v_add_f32_e32 v0, v128, v167
	v_add_f32_e32 v148, v0, v157
	v_add_f32_e32 v0, v167, v157
	v_fma_f32 v128, -0.5, v0, v128
	v_sub_f32_e32 v0, v156, v152
	v_mov_b32_e32 v150, v128
	v_fmac_f32_e32 v150, 0x3f5db3d7, v0
	v_fmac_f32_e32 v128, 0xbf5db3d7, v0
	v_add_f32_e32 v0, v129, v156
	v_add_f32_e32 v149, v0, v152
	v_add_f32_e32 v0, v156, v152
	v_fma_f32 v129, -0.5, v0, v129
	v_sub_f32_e32 v0, v167, v157
	v_mov_b32_e32 v151, v129
	v_fmac_f32_e32 v151, 0xbf5db3d7, v0
	v_fmac_f32_e32 v129, 0x3f5db3d7, v0
	v_add_f32_e32 v0, v130, v177
	v_add_f32_e32 v152, v0, v159
	v_add_f32_e32 v0, v177, v159
	v_fma_f32 v130, -0.5, v0, v130
	v_sub_f32_e32 v0, v158, v178
	v_mov_b32_e32 v154, v130
	v_fmac_f32_e32 v154, 0x3f5db3d7, v0
	v_fmac_f32_e32 v130, 0xbf5db3d7, v0
	v_add_f32_e32 v0, v131, v158
	v_add_f32_e32 v153, v0, v178
	v_add_f32_e32 v0, v158, v178
	v_fmac_f32_e32 v131, -0.5, v0
	v_sub_f32_e32 v0, v177, v159
	v_mov_b32_e32 v155, v131
	v_fmac_f32_e32 v155, 0xbf5db3d7, v0
	v_fmac_f32_e32 v131, 0x3f5db3d7, v0
	;; [unrolled: 32-line block ×3, first 2 shown]
	v_add_f32_e32 v0, v120, v198
	v_add_f32_e32 v166, v0, v200
	;; [unrolled: 1-line block ×3, first 2 shown]
	v_fmac_f32_e32 v201, v137, v114
	v_mul_f32_e32 v136, v171, v61
	v_fma_f32 v120, -0.5, v0, v120
	v_fma_f32 v136, v170, v60, -v136
	v_mul_f32_e32 v137, v170, v61
	v_sub_f32_e32 v0, v199, v201
	v_mov_b32_e32 v170, v120
	v_fmac_f32_e32 v170, 0x3f5db3d7, v0
	v_fmac_f32_e32 v120, 0xbf5db3d7, v0
	v_add_f32_e32 v0, v121, v199
	v_add_f32_e32 v167, v0, v201
	;; [unrolled: 1-line block ×3, first 2 shown]
	v_fma_f32 v121, -0.5, v0, v121
	v_fmac_f32_e32 v137, v171, v60
	v_sub_f32_e32 v0, v198, v200
	v_mov_b32_e32 v171, v121
	v_fmac_f32_e32 v171, 0xbf5db3d7, v0
	v_fmac_f32_e32 v121, 0x3f5db3d7, v0
	v_add_f32_e32 v0, v122, v202
	v_add_f32_e32 v176, v0, v204
	;; [unrolled: 1-line block ×3, first 2 shown]
	v_fma_f32 v122, -0.5, v0, v122
	v_sub_f32_e32 v0, v203, v205
	v_mov_b32_e32 v178, v122
	v_fmac_f32_e32 v178, 0x3f5db3d7, v0
	v_fmac_f32_e32 v122, 0xbf5db3d7, v0
	v_add_f32_e32 v0, v123, v203
	ds_write2_b64 v216, v[140:141], v[142:143] offset1:150
	ds_write_b64 v216, v[132:133] offset:2400
	v_mov_b32_e32 v132, 0x1c2
	v_add_f32_e32 v177, v0, v205
	v_add_f32_e32 v0, v203, v205
	v_cndmask_b32_e32 v132, 0, v132, vcc
	v_fmac_f32_e32 v123, -0.5, v0
	v_sub_f32_e32 v0, v202, v204
	v_add_lshl_u32 v132, v175, v132, 3
	v_add_u32_e32 v202, 0xc00, v216
	ds_write2_b64 v132, v[144:145], v[146:147] offset1:150
	buffer_store_dword v132, off, s[20:23], 0 offset:184 ; 4-byte Folded Spill
	ds_write_b64 v132, v[134:135] offset:2400
	ds_write2_b64 v202, v[148:149], v[150:151] offset0:96 offset1:246
	ds_write_b64 v216, v[128:129] offset:6240
	v_mad_legacy_u16 v128, v180, s4, v181
	v_mov_b32_e32 v179, v123
	v_lshlrev_b32_e32 v128, 3, v128
	v_lshlrev_b32_e32 v129, 3, v182
	v_fmac_f32_e32 v179, 0xbf5db3d7, v0
	v_fmac_f32_e32 v123, 0x3f5db3d7, v0
	v_add_f32_e32 v0, v136, v138
	ds_write2_b64 v128, v[152:153], v[154:155] offset1:150
	ds_write_b64 v128, v[130:131] offset:2400
	ds_write_b64 v129, v[124:125] offset:9600
	v_lshlrev_b32_e32 v125, 3, v183
	v_fmac_f32_e32 v139, v1, v62
	v_fma_f32 v0, -0.5, v0, v172
	v_add_u32_e32 v124, 0x2800, v125
	v_sub_f32_e32 v1, v137, v139
	v_mov_b32_e32 v162, v0
	ds_write2_b64 v124, v[160:161], v[164:165] offset0:70 offset1:220
	v_mad_legacy_u16 v124, v184, s4, v185
	v_fmac_f32_e32 v162, 0x3f5db3d7, v1
	v_fmac_f32_e32 v0, 0xbf5db3d7, v1
	v_add_f32_e32 v1, v137, v139
	buffer_store_dword v128, off, s[20:23], 0 offset:188 ; 4-byte Folded Spill
	v_add_u32_e32 v128, 0x1c00, v129
	v_lshlrev_b32_e32 v124, 3, v124
	v_fma_f32 v1, -0.5, v1, v173
	ds_write2_b64 v128, v[156:157], v[158:159] offset0:4 offset1:154
	ds_write_b64 v125, v[126:127] offset:13200
	ds_write_b64 v124, v[120:121] offset:2400
	v_lshlrev_b32_e32 v121, 3, v188
	v_sub_f32_e32 v189, v136, v138
	v_mov_b32_e32 v163, v1
	v_add_u32_e32 v120, 0x3800, v121
	v_fmac_f32_e32 v163, 0xbf5db3d7, v189
	v_fmac_f32_e32 v1, 0x3f5db3d7, v189
	ds_write2_b64 v124, v[166:167], v[170:171] offset1:150
	ds_write2_b64 v120, v[176:177], v[178:179] offset0:8 offset1:158
	v_lshlrev_b32_e32 v120, 3, v174
	buffer_store_dword v129, off, s[20:23], 0 offset:192 ; 4-byte Folded Spill
	buffer_store_dword v125, off, s[20:23], 0 offset:196 ; 4-byte Folded Spill
	;; [unrolled: 1-line block ×4, first 2 shown]
	ds_write_b64 v121, v[122:123] offset:16800
	buffer_store_dword v120, off, s[20:23], 0 offset:180 ; 4-byte Folded Spill
	s_and_saveexec_b64 s[4:5], s[2:3]
	s_cbranch_execz .LBB0_15
; %bb.14:
	buffer_load_dword v123, off, s[20:23], 0 offset:180 ; 4-byte Folded Reload
	v_add_f32_e32 v120, v173, v137
	v_add_f32_e32 v121, v120, v139
	;; [unrolled: 1-line block ×4, first 2 shown]
	s_waitcnt vmcnt(0)
	v_add_u32_e32 v122, 0x3800, v123
	ds_write2_b64 v122, v[120:121], v[162:163] offset0:8 offset1:158
	ds_write_b64 v123, v[0:1] offset:16800
.LBB0_15:
	s_or_b64 exec, exec, s[4:5]
	v_mov_b32_e32 v120, s19
	v_add_u32_e32 v200, 0x800, v216
	v_add_u32_e32 v246, 0x1800, v216
	;; [unrolled: 1-line block ×11, first 2 shown]
	v_lshlrev_b32_e32 v124, 5, v217
	v_addc_co_u32_e64 v201, vcc, 0, v120, s[6:7]
	s_waitcnt vmcnt(0) lgkmcnt(0)
	s_barrier
	ds_read2_b64 v[174:177], v216 offset1:90
	ds_read2_b64 v[164:167], v200 offset0:104 offset1:194
	ds_read2_b64 v[134:137], v246 offset0:132 offset1:222
	;; [unrolled: 1-line block ×11, first 2 shown]
	ds_read_b64 v[188:189], v216 offset:17280
	global_load_dwordx4 v[120:123], v124, s[10:11] offset:3536
	s_nop 0
	global_load_dwordx4 v[124:127], v124, s[10:11] offset:3520
	v_lshlrev_b32_e32 v132, 5, v191
	s_movk_i32 s4, 0x4650
	s_movk_i32 s8, 0x1000
	;; [unrolled: 1-line block ×4, first 2 shown]
	s_waitcnt vmcnt(1) lgkmcnt(8)
	v_mul_f32_e32 v209, v138, v123
	s_waitcnt vmcnt(0)
	v_mul_f32_e32 v128, v167, v125
	v_fma_f32 v210, v166, v124, -v128
	v_mul_f32_e32 v128, v135, v127
	v_fma_f32 v220, v134, v126, -v128
	v_mul_f32_e32 v128, v181, v121
	v_mul_f32_e32 v205, v134, v127
	v_fma_f32 v222, v180, v120, -v128
	v_mul_f32_e32 v128, v139, v123
	v_fmac_f32_e32 v205, v135, v126
	v_fma_f32 v227, v138, v122, -v128
	global_load_dwordx4 v[128:131], v132, s[10:11] offset:3536
	s_nop 0
	global_load_dwordx4 v[132:135], v132, s[10:11] offset:3520
	v_mul_f32_e32 v207, v180, v121
	v_fmac_f32_e32 v207, v181, v120
	v_mul_f32_e32 v204, v166, v125
	v_fmac_f32_e32 v204, v167, v124
	v_fmac_f32_e32 v209, v139, v122
	s_waitcnt vmcnt(1)
	v_mul_f32_e32 v208, v140, v131
	s_waitcnt vmcnt(0) lgkmcnt(7)
	v_mul_f32_e32 v138, v143, v133
	v_fma_f32 v213, v142, v132, -v138
	v_mul_f32_e32 v138, v137, v135
	v_fma_f32 v192, v136, v134, -v138
	v_mul_f32_e32 v181, v136, v135
	s_waitcnt lgkmcnt(6)
	v_mul_f32_e32 v136, v147, v129
	v_fma_f32 v221, v146, v128, -v136
	v_mul_f32_e32 v136, v141, v131
	v_mul_f32_e32 v167, v142, v133
	v_fma_f32 v224, v140, v130, -v136
	v_lshlrev_b32_e32 v140, 5, v190
	v_fmac_f32_e32 v167, v143, v132
	v_fmac_f32_e32 v181, v137, v134
	;; [unrolled: 1-line block ×3, first 2 shown]
	global_load_dwordx4 v[136:139], v140, s[10:11] offset:3536
	s_nop 0
	global_load_dwordx4 v[140:143], v140, s[10:11] offset:3520
	v_mul_f32_e32 v191, v146, v129
	v_fmac_f32_e32 v191, v147, v128
	s_waitcnt vmcnt(1)
	v_mul_f32_e32 v190, v148, v137
	s_waitcnt vmcnt(0)
	v_mul_f32_e32 v146, v145, v141
	v_fma_f32 v211, v144, v140, -v146
	v_mul_f32_e32 v166, v144, v141
	s_waitcnt lgkmcnt(4)
	v_mul_f32_e32 v144, v151, v143
	v_fma_f32 v212, v150, v142, -v144
	v_mul_f32_e32 v144, v149, v137
	v_fma_f32 v193, v148, v136, -v144
	s_waitcnt lgkmcnt(3)
	v_mul_f32_e32 v144, v155, v139
	v_fmac_f32_e32 v166, v145, v140
	v_fma_f32 v223, v154, v138, -v144
	v_lshlrev_b64 v[144:145], 5, v[186:187]
	v_mul_f32_e32 v206, v154, v139
	v_add_co_u32_e32 v148, vcc, s10, v144
	v_mov_b32_e32 v154, s11
	v_mul_f32_e32 v180, v150, v143
	v_fmac_f32_e32 v190, v149, v136
	v_addc_co_u32_e32 v149, vcc, v154, v145, vcc
	v_fmac_f32_e32 v180, v151, v142
	global_load_dwordx4 v[144:147], v[148:149], off offset:3536
	s_nop 0
	global_load_dwordx4 v[148:151], v[148:149], off offset:3520
	v_fmac_f32_e32 v206, v155, v138
	s_waitcnt vmcnt(1)
	v_mul_f32_e32 v187, v156, v147
	s_waitcnt vmcnt(0) lgkmcnt(2)
	v_mul_f32_e32 v155, v183, v149
	v_fma_f32 v225, v182, v148, -v155
	v_mul_f32_e32 v182, v182, v149
	v_mul_f32_e32 v155, v153, v151
	v_fmac_f32_e32 v182, v183, v148
	v_fma_f32 v226, v152, v150, -v155
	v_mul_f32_e32 v183, v152, v151
	s_waitcnt lgkmcnt(1)
	v_mul_f32_e32 v152, v159, v145
	v_fma_f32 v228, v158, v144, -v152
	v_mul_f32_e32 v152, v157, v147
	v_fmac_f32_e32 v183, v153, v150
	v_fma_f32 v229, v156, v146, -v152
	v_lshlrev_b64 v[152:153], 5, v[168:169]
	v_mul_f32_e32 v186, v158, v145
	v_add_co_u32_e32 v156, vcc, s10, v152
	v_fmac_f32_e32 v187, v157, v146
	v_addc_co_u32_e32 v157, vcc, v154, v153, vcc
	v_fmac_f32_e32 v186, v159, v144
	global_load_dwordx4 v[152:155], v[156:157], off offset:3536
	s_nop 0
	global_load_dwordx4 v[156:159], v[156:157], off offset:3520
	s_waitcnt vmcnt(1)
	v_mul_f32_e32 v242, v160, v153
	s_waitcnt vmcnt(0)
	v_mul_f32_e32 v168, v185, v157
	v_fma_f32 v169, v184, v156, -v168
	v_mul_f32_e32 v168, v179, v159
	v_fma_f32 v239, v178, v158, -v168
	;; [unrolled: 2-line block ×3, first 2 shown]
	s_waitcnt lgkmcnt(0)
	v_mul_f32_e32 v160, v189, v155
	v_fma_f32 v243, v188, v154, -v160
	v_add_f32_e32 v160, v174, v210
	v_add_f32_e32 v160, v160, v220
	;; [unrolled: 1-line block ×3, first 2 shown]
	v_mul_f32_e32 v240, v178, v159
	v_add_f32_e32 v178, v160, v227
	v_add_f32_e32 v160, v220, v222
	v_mul_f32_e32 v238, v184, v157
	v_fma_f32 v184, -0.5, v160, v174
	v_mul_f32_e32 v194, v188, v155
	v_sub_f32_e32 v160, v204, v209
	v_mov_b32_e32 v188, v184
	v_fmac_f32_e32 v240, v179, v158
	v_fmac_f32_e32 v242, v161, v152
	;; [unrolled: 1-line block ×3, first 2 shown]
	v_sub_f32_e32 v161, v205, v207
	v_sub_f32_e32 v168, v210, v220
	;; [unrolled: 1-line block ×3, first 2 shown]
	v_fmac_f32_e32 v184, 0xbf737871, v160
	v_fmac_f32_e32 v188, 0x3f167918, v161
	v_add_f32_e32 v168, v168, v179
	v_fmac_f32_e32 v184, 0xbf167918, v161
	v_fmac_f32_e32 v188, 0x3e9e377a, v168
	v_fmac_f32_e32 v184, 0x3e9e377a, v168
	v_add_f32_e32 v168, v210, v227
	v_fma_f32 v174, -0.5, v168, v174
	v_mov_b32_e32 v230, v174
	v_fmac_f32_e32 v230, 0xbf737871, v161
	v_fmac_f32_e32 v174, 0x3f737871, v161
	v_fmac_f32_e32 v230, 0x3f167918, v160
	v_fmac_f32_e32 v174, 0xbf167918, v160
	v_add_f32_e32 v160, v175, v204
	v_add_f32_e32 v160, v160, v205
	v_sub_f32_e32 v168, v220, v210
	v_sub_f32_e32 v179, v222, v227
	v_add_f32_e32 v160, v160, v207
	v_add_f32_e32 v168, v168, v179
	;; [unrolled: 1-line block ×4, first 2 shown]
	v_fmac_f32_e32 v238, v185, v156
	v_fma_f32 v185, -0.5, v160, v175
	v_fmac_f32_e32 v194, v189, v154
	v_sub_f32_e32 v160, v210, v227
	v_mov_b32_e32 v189, v185
	v_fmac_f32_e32 v230, 0x3e9e377a, v168
	v_fmac_f32_e32 v174, 0x3e9e377a, v168
	;; [unrolled: 1-line block ×3, first 2 shown]
	v_sub_f32_e32 v161, v220, v222
	v_sub_f32_e32 v168, v204, v205
	;; [unrolled: 1-line block ×3, first 2 shown]
	v_fmac_f32_e32 v185, 0x3f737871, v160
	v_fmac_f32_e32 v189, 0xbf167918, v161
	v_add_f32_e32 v168, v168, v210
	v_fmac_f32_e32 v185, 0x3f167918, v161
	v_fmac_f32_e32 v189, 0x3e9e377a, v168
	;; [unrolled: 1-line block ×3, first 2 shown]
	v_add_f32_e32 v168, v204, v209
	v_fma_f32 v175, -0.5, v168, v175
	v_mov_b32_e32 v231, v175
	v_fmac_f32_e32 v231, 0x3f737871, v161
	v_fmac_f32_e32 v175, 0xbf737871, v161
	;; [unrolled: 1-line block ×4, first 2 shown]
	v_add_f32_e32 v160, v176, v213
	v_add_f32_e32 v160, v160, v192
	v_sub_f32_e32 v168, v205, v204
	v_sub_f32_e32 v204, v207, v209
	v_add_f32_e32 v160, v160, v221
	v_add_f32_e32 v168, v168, v204
	;; [unrolled: 1-line block ×4, first 2 shown]
	v_fma_f32 v209, -0.5, v160, v176
	v_sub_f32_e32 v160, v167, v208
	v_mov_b32_e32 v232, v209
	v_fmac_f32_e32 v231, 0x3e9e377a, v168
	v_fmac_f32_e32 v175, 0x3e9e377a, v168
	;; [unrolled: 1-line block ×3, first 2 shown]
	v_sub_f32_e32 v161, v181, v191
	v_sub_f32_e32 v168, v213, v192
	;; [unrolled: 1-line block ×3, first 2 shown]
	v_fmac_f32_e32 v209, 0xbf737871, v160
	v_fmac_f32_e32 v232, 0x3f167918, v161
	v_add_f32_e32 v168, v168, v205
	v_fmac_f32_e32 v209, 0xbf167918, v161
	v_fmac_f32_e32 v232, 0x3e9e377a, v168
	;; [unrolled: 1-line block ×3, first 2 shown]
	v_add_f32_e32 v168, v213, v224
	v_fma_f32 v176, -0.5, v168, v176
	v_mov_b32_e32 v220, v176
	v_fmac_f32_e32 v220, 0xbf737871, v161
	v_fmac_f32_e32 v176, 0x3f737871, v161
	;; [unrolled: 1-line block ×4, first 2 shown]
	v_add_f32_e32 v160, v177, v167
	v_add_f32_e32 v160, v160, v181
	v_sub_f32_e32 v168, v192, v213
	v_sub_f32_e32 v205, v221, v224
	v_add_f32_e32 v160, v160, v191
	v_add_f32_e32 v168, v168, v205
	;; [unrolled: 1-line block ×4, first 2 shown]
	v_fma_f32 v210, -0.5, v160, v177
	v_sub_f32_e32 v160, v213, v224
	v_mov_b32_e32 v233, v210
	v_fmac_f32_e32 v220, 0x3e9e377a, v168
	v_fmac_f32_e32 v176, 0x3e9e377a, v168
	;; [unrolled: 1-line block ×3, first 2 shown]
	v_sub_f32_e32 v161, v192, v221
	v_sub_f32_e32 v168, v167, v181
	;; [unrolled: 1-line block ×3, first 2 shown]
	v_fmac_f32_e32 v210, 0x3f737871, v160
	v_fmac_f32_e32 v233, 0xbf167918, v161
	v_add_f32_e32 v168, v168, v192
	v_fmac_f32_e32 v210, 0x3f167918, v161
	v_fmac_f32_e32 v233, 0x3e9e377a, v168
	v_fmac_f32_e32 v210, 0x3e9e377a, v168
	v_add_f32_e32 v168, v167, v208
	v_fmac_f32_e32 v177, -0.5, v168
	v_mov_b32_e32 v221, v177
	v_fmac_f32_e32 v221, 0x3f737871, v161
	v_fmac_f32_e32 v177, 0xbf737871, v161
	;; [unrolled: 1-line block ×4, first 2 shown]
	v_add_f32_e32 v160, v170, v211
	v_add_f32_e32 v160, v160, v212
	;; [unrolled: 1-line block ×3, first 2 shown]
	v_sub_f32_e32 v168, v191, v208
	v_add_f32_e32 v191, v160, v223
	v_add_f32_e32 v160, v212, v193
	v_sub_f32_e32 v167, v181, v167
	v_fma_f32 v207, -0.5, v160, v170
	v_add_f32_e32 v167, v167, v168
	v_sub_f32_e32 v160, v166, v206
	v_mov_b32_e32 v222, v207
	v_fmac_f32_e32 v221, 0x3e9e377a, v167
	v_fmac_f32_e32 v177, 0x3e9e377a, v167
	;; [unrolled: 1-line block ×3, first 2 shown]
	v_sub_f32_e32 v161, v180, v190
	v_sub_f32_e32 v167, v211, v212
	;; [unrolled: 1-line block ×3, first 2 shown]
	v_fmac_f32_e32 v207, 0xbf737871, v160
	v_fmac_f32_e32 v222, 0x3f167918, v161
	v_add_f32_e32 v167, v167, v168
	v_fmac_f32_e32 v207, 0xbf167918, v161
	v_fmac_f32_e32 v222, 0x3e9e377a, v167
	v_fmac_f32_e32 v207, 0x3e9e377a, v167
	v_add_f32_e32 v167, v211, v223
	v_fma_f32 v234, -0.5, v167, v170
	v_mov_b32_e32 v236, v234
	v_fmac_f32_e32 v236, 0xbf737871, v161
	v_fmac_f32_e32 v234, 0x3f737871, v161
	;; [unrolled: 1-line block ×4, first 2 shown]
	v_add_f32_e32 v160, v171, v166
	v_add_f32_e32 v160, v160, v180
	;; [unrolled: 1-line block ×5, first 2 shown]
	v_sub_f32_e32 v167, v212, v211
	v_sub_f32_e32 v168, v193, v223
	v_fma_f32 v208, -0.5, v160, v171
	v_add_f32_e32 v167, v167, v168
	v_sub_f32_e32 v160, v211, v223
	v_mov_b32_e32 v223, v208
	v_fmac_f32_e32 v236, 0x3e9e377a, v167
	v_fmac_f32_e32 v234, 0x3e9e377a, v167
	;; [unrolled: 1-line block ×3, first 2 shown]
	v_sub_f32_e32 v161, v212, v193
	v_sub_f32_e32 v167, v166, v180
	;; [unrolled: 1-line block ×3, first 2 shown]
	v_fmac_f32_e32 v208, 0x3f737871, v160
	v_fmac_f32_e32 v223, 0xbf167918, v161
	v_add_f32_e32 v167, v167, v168
	v_fmac_f32_e32 v208, 0x3f167918, v161
	v_fmac_f32_e32 v223, 0x3e9e377a, v167
	;; [unrolled: 1-line block ×3, first 2 shown]
	v_add_f32_e32 v167, v166, v206
	v_fma_f32 v235, -0.5, v167, v171
	v_mov_b32_e32 v237, v235
	v_fmac_f32_e32 v237, 0x3f737871, v161
	v_fmac_f32_e32 v235, 0xbf737871, v161
	;; [unrolled: 1-line block ×4, first 2 shown]
	v_add_f32_e32 v160, v172, v225
	v_add_f32_e32 v160, v160, v226
	;; [unrolled: 1-line block ×3, first 2 shown]
	v_sub_f32_e32 v166, v180, v166
	v_add_f32_e32 v180, v160, v229
	v_add_f32_e32 v160, v226, v228
	v_sub_f32_e32 v167, v190, v206
	v_fma_f32 v211, -0.5, v160, v172
	v_add_f32_e32 v166, v166, v167
	v_sub_f32_e32 v160, v182, v187
	v_mov_b32_e32 v224, v211
	v_fmac_f32_e32 v237, 0x3e9e377a, v166
	v_fmac_f32_e32 v235, 0x3e9e377a, v166
	;; [unrolled: 1-line block ×3, first 2 shown]
	v_sub_f32_e32 v161, v183, v186
	v_sub_f32_e32 v166, v225, v226
	;; [unrolled: 1-line block ×3, first 2 shown]
	v_fmac_f32_e32 v211, 0xbf737871, v160
	v_fmac_f32_e32 v224, 0x3f167918, v161
	v_add_f32_e32 v166, v166, v167
	v_fmac_f32_e32 v211, 0xbf167918, v161
	v_fmac_f32_e32 v224, 0x3e9e377a, v166
	;; [unrolled: 1-line block ×3, first 2 shown]
	v_add_f32_e32 v166, v225, v229
	v_fma_f32 v172, -0.5, v166, v172
	v_mov_b32_e32 v227, v172
	v_fmac_f32_e32 v227, 0xbf737871, v161
	v_fmac_f32_e32 v172, 0x3f737871, v161
	;; [unrolled: 1-line block ×4, first 2 shown]
	v_add_f32_e32 v160, v173, v182
	v_add_f32_e32 v160, v160, v183
	;; [unrolled: 1-line block ×5, first 2 shown]
	v_sub_f32_e32 v166, v226, v225
	v_sub_f32_e32 v167, v228, v229
	v_fma_f32 v212, -0.5, v160, v173
	v_add_f32_e32 v166, v166, v167
	v_sub_f32_e32 v160, v225, v229
	v_mov_b32_e32 v225, v212
	v_fmac_f32_e32 v227, 0x3e9e377a, v166
	v_fmac_f32_e32 v172, 0x3e9e377a, v166
	;; [unrolled: 1-line block ×3, first 2 shown]
	v_sub_f32_e32 v161, v226, v228
	v_sub_f32_e32 v166, v182, v183
	;; [unrolled: 1-line block ×3, first 2 shown]
	v_fmac_f32_e32 v212, 0x3f737871, v160
	v_fmac_f32_e32 v225, 0xbf167918, v161
	v_add_f32_e32 v166, v166, v167
	v_fmac_f32_e32 v212, 0x3f167918, v161
	v_fmac_f32_e32 v225, 0x3e9e377a, v166
	;; [unrolled: 1-line block ×3, first 2 shown]
	v_add_f32_e32 v166, v182, v187
	v_fmac_f32_e32 v173, -0.5, v166
	v_mov_b32_e32 v228, v173
	v_fmac_f32_e32 v228, 0x3f737871, v161
	v_fmac_f32_e32 v173, 0xbf737871, v161
	;; [unrolled: 1-line block ×4, first 2 shown]
	v_add_f32_e32 v160, v164, v169
	v_sub_f32_e32 v166, v183, v182
	v_sub_f32_e32 v167, v186, v187
	v_add_f32_e32 v160, v160, v239
	v_add_f32_e32 v166, v166, v167
	;; [unrolled: 1-line block ×3, first 2 shown]
	v_fmac_f32_e32 v228, 0x3e9e377a, v166
	v_fmac_f32_e32 v173, 0x3e9e377a, v166
	v_add_f32_e32 v166, v160, v243
	v_add_f32_e32 v160, v239, v241
	v_fma_f32 v160, -0.5, v160, v164
	v_sub_f32_e32 v161, v238, v194
	v_mov_b32_e32 v168, v160
	v_fmac_f32_e32 v168, 0x3f737871, v161
	v_sub_f32_e32 v167, v240, v242
	v_sub_f32_e32 v170, v169, v239
	;; [unrolled: 1-line block ×3, first 2 shown]
	v_fmac_f32_e32 v160, 0xbf737871, v161
	v_fmac_f32_e32 v168, 0x3f167918, v167
	v_add_f32_e32 v170, v170, v171
	v_fmac_f32_e32 v160, 0xbf167918, v167
	v_fmac_f32_e32 v168, 0x3e9e377a, v170
	;; [unrolled: 1-line block ×3, first 2 shown]
	v_add_f32_e32 v170, v169, v243
	v_fma_f32 v164, -0.5, v170, v164
	v_mov_b32_e32 v170, v164
	v_fmac_f32_e32 v170, 0xbf737871, v167
	v_fmac_f32_e32 v164, 0x3f737871, v167
	v_fmac_f32_e32 v170, 0x3f167918, v161
	v_fmac_f32_e32 v164, 0xbf167918, v161
	v_add_f32_e32 v161, v165, v238
	v_add_f32_e32 v161, v161, v240
	;; [unrolled: 1-line block ×5, first 2 shown]
	v_sub_f32_e32 v171, v239, v169
	v_sub_f32_e32 v182, v241, v243
	v_fma_f32 v161, -0.5, v161, v165
	v_add_f32_e32 v171, v171, v182
	v_sub_f32_e32 v182, v169, v243
	v_mov_b32_e32 v169, v161
	v_fmac_f32_e32 v170, 0x3e9e377a, v171
	v_fmac_f32_e32 v164, 0x3e9e377a, v171
	;; [unrolled: 1-line block ×3, first 2 shown]
	v_sub_f32_e32 v183, v239, v241
	v_sub_f32_e32 v171, v238, v240
	;; [unrolled: 1-line block ×3, first 2 shown]
	v_fmac_f32_e32 v161, 0x3f737871, v182
	v_fmac_f32_e32 v169, 0xbf167918, v183
	v_add_f32_e32 v171, v171, v186
	v_fmac_f32_e32 v161, 0x3f167918, v183
	v_fmac_f32_e32 v169, 0x3e9e377a, v171
	;; [unrolled: 1-line block ×3, first 2 shown]
	v_add_f32_e32 v171, v238, v194
	v_fmac_f32_e32 v165, -0.5, v171
	v_mov_b32_e32 v171, v165
	v_fmac_f32_e32 v171, 0x3f737871, v183
	v_sub_f32_e32 v186, v240, v238
	v_sub_f32_e32 v187, v242, v194
	v_fmac_f32_e32 v165, 0xbf737871, v183
	ds_write_b64 v216, v[188:189] offset:3600
	ds_write_b64 v216, v[230:231] offset:7200
	;; [unrolled: 1-line block ×4, first 2 shown]
	ds_write2_b64 v216, v[178:179], v[204:205] offset1:90
	ds_write_b64 v216, v[220:221] offset:7920
	ds_write_b64 v216, v[176:177] offset:11520
	;; [unrolled: 1-line block ×3, first 2 shown]
	ds_write2_b64 v196, v[232:233], v[222:223] offset0:28 offset1:118
	ds_write2_b64 v198, v[191:192], v[180:181] offset0:52 offset1:142
	;; [unrolled: 1-line block ×3, first 2 shown]
	v_add_co_u32_e32 v176, vcc, s4, v214
	v_fmac_f32_e32 v171, 0xbf167918, v182
	v_add_f32_e32 v186, v186, v187
	v_fmac_f32_e32 v165, 0x3f167918, v182
	v_add_u32_e32 v194, 0x2c00, v216
	v_addc_co_u32_e32 v177, vcc, 0, v201, vcc
	s_movk_i32 s4, 0x4000
	v_fmac_f32_e32 v171, 0x3e9e377a, v186
	v_fmac_f32_e32 v165, 0x3e9e377a, v186
	ds_write2_b64 v194, v[234:235], v[172:173] offset0:122 offset1:212
	ds_write2_b64 v195, v[207:208], v[211:212] offset0:60 offset1:150
	ds_write_b64 v216, v[166:167] offset:2880
	ds_write2_b64 v203, v[224:225], v[168:169] offset0:80 offset1:170
	ds_write_b64 v216, v[170:171] offset:10080
	ds_write_b64 v216, v[164:165] offset:13680
	;; [unrolled: 1-line block ×3, first 2 shown]
	v_add_co_u32_e32 v172, vcc, s4, v214
	v_addc_co_u32_e32 v173, vcc, 0, v201, vcc
	s_waitcnt lgkmcnt(0)
	s_barrier
	global_load_dwordx2 v[172:173], v[172:173], off offset:1616
	ds_read2_b64 v[178:181], v216 offset1:90
	s_movk_i32 s4, 0x5000
	s_waitcnt vmcnt(0) lgkmcnt(0)
	v_mul_f32_e32 v174, v179, v173
	v_mul_f32_e32 v175, v178, v173
	v_fma_f32 v174, v178, v172, -v174
	v_fmac_f32_e32 v175, v179, v172
	global_load_dwordx2 v[172:173], v[176:177], off offset:1800
	ds_write_b64 v216, v[174:175]
	ds_read2_b64 v[182:185], v198 offset0:97 offset1:187
	ds_read2_b64 v[186:189], v202 offset0:66 offset1:156
	;; [unrolled: 1-line block ×8, first 2 shown]
	s_waitcnt vmcnt(0) lgkmcnt(7)
	v_mul_f32_e32 v174, v183, v173
	v_mul_f32_e32 v179, v182, v173
	v_fma_f32 v178, v182, v172, -v174
	v_fmac_f32_e32 v179, v183, v172
	global_load_dwordx2 v[172:173], v[176:177], off offset:3600
	s_waitcnt vmcnt(0) lgkmcnt(6)
	v_mul_f32_e32 v174, v187, v173
	v_fma_f32 v182, v186, v172, -v174
	v_mul_f32_e32 v183, v186, v173
	v_add_co_u32_e32 v186, vcc, s4, v214
	v_fmac_f32_e32 v183, v187, v172
	v_addc_co_u32_e32 v187, vcc, 0, v201, vcc
	global_load_dwordx2 v[172:173], v[186:187], off offset:2920
	s_movk_i32 s4, 0x6000
	s_waitcnt vmcnt(0) lgkmcnt(5)
	v_mul_f32_e32 v174, v191, v173
	v_fma_f32 v228, v190, v172, -v174
	v_mul_f32_e32 v229, v190, v173
	v_add_co_u32_e32 v190, vcc, s4, v214
	v_fmac_f32_e32 v229, v191, v172
	v_addc_co_u32_e32 v191, vcc, 0, v201, vcc
	global_load_dwordx2 v[172:173], v[190:191], off offset:624
	s_movk_i32 s4, 0x7000
	s_waitcnt vmcnt(0) lgkmcnt(4)
	v_mul_f32_e32 v174, v203, v173
	v_mul_f32_e32 v231, v202, v173
	v_fma_f32 v230, v202, v172, -v174
	v_fmac_f32_e32 v231, v203, v172
	global_load_dwordx2 v[172:173], v[190:191], off offset:2424
	s_waitcnt vmcnt(0) lgkmcnt(3)
	v_mul_f32_e32 v174, v207, v173
	v_fma_f32 v202, v206, v172, -v174
	v_mul_f32_e32 v203, v206, v173
	v_add_co_u32_e32 v206, vcc, s4, v214
	v_fmac_f32_e32 v203, v207, v172
	v_addc_co_u32_e32 v207, vcc, 0, v201, vcc
	global_load_dwordx2 v[172:173], v[206:207], off offset:128
	s_mov_b32 s4, 0x8000
	s_waitcnt vmcnt(0) lgkmcnt(2)
	v_mul_f32_e32 v174, v211, v173
	v_mul_f32_e32 v233, v210, v173
	v_fma_f32 v232, v210, v172, -v174
	v_fmac_f32_e32 v233, v211, v172
	global_load_dwordx2 v[172:173], v[206:207], off offset:1928
	s_waitcnt vmcnt(0) lgkmcnt(1)
	v_mul_f32_e32 v174, v221, v173
	v_mul_f32_e32 v211, v220, v173
	v_fma_f32 v210, v220, v172, -v174
	v_fmac_f32_e32 v211, v221, v172
	global_load_dwordx2 v[172:173], v[206:207], off offset:3728
	s_waitcnt vmcnt(0) lgkmcnt(0)
	v_mul_f32_e32 v174, v225, v173
	v_fma_f32 v220, v224, v172, -v174
	v_mul_f32_e32 v221, v224, v173
	v_add_co_u32_e32 v224, vcc, s4, v214
	v_fmac_f32_e32 v221, v225, v172
	v_addc_co_u32_e32 v225, vcc, 0, v201, vcc
	global_load_dwordx2 v[234:235], v[224:225], off offset:1432
	ds_read2_b64 v[172:175], v195 offset0:105 offset1:195
	s_waitcnt vmcnt(0) lgkmcnt(0)
	v_mul_f32_e32 v201, v173, v235
	v_mul_f32_e32 v237, v172, v235
	v_fma_f32 v236, v172, v234, -v201
	v_fmac_f32_e32 v237, v173, v234
	global_load_dwordx2 v[172:173], v[176:177], off offset:720
	s_waitcnt vmcnt(0)
	v_mul_f32_e32 v201, v181, v173
	v_mul_f32_e32 v235, v180, v173
	v_fma_f32 v234, v180, v172, -v201
	v_fmac_f32_e32 v235, v181, v172
	global_load_dwordx2 v[172:173], v[176:177], off offset:2520
	ds_write2_b64 v216, v[234:235], v[178:179] offset0:90 offset1:225
	s_waitcnt vmcnt(0)
	v_mul_f32_e32 v178, v185, v173
	v_mul_f32_e32 v179, v184, v173
	v_fma_f32 v178, v184, v172, -v178
	v_fmac_f32_e32 v179, v185, v172
	global_load_dwordx2 v[172:173], v[186:187], off offset:1840
	ds_write2_b64 v200, v[178:179], v[182:183] offset0:59 offset1:194
	;; [unrolled: 7-line block ×3, first 2 shown]
	s_waitcnt vmcnt(0)
	v_mul_f32_e32 v178, v193, v173
	v_mul_f32_e32 v179, v192, v173
	v_fma_f32 v178, v192, v172, -v178
	v_fmac_f32_e32 v179, v193, v172
	v_add_u32_e32 v172, 0x1600, v216
	ds_write2_b64 v172, v[178:179], v[230:231] offset0:61 offset1:196
	global_load_dwordx2 v[172:173], v[190:191], off offset:1344
	s_waitcnt vmcnt(0)
	v_mul_f32_e32 v178, v205, v173
	v_mul_f32_e32 v179, v204, v173
	v_fma_f32 v178, v204, v172, -v178
	v_fmac_f32_e32 v179, v205, v172
	v_add_u32_e32 v172, 0x1c00, v216
	ds_write2_b64 v172, v[178:179], v[202:203] offset0:94 offset1:229
	global_load_dwordx2 v[172:173], v[190:191], off offset:3144
	s_waitcnt vmcnt(0)
	v_mul_f32_e32 v178, v209, v173
	v_mul_f32_e32 v179, v208, v173
	v_fma_f32 v178, v208, v172, -v178
	v_fmac_f32_e32 v179, v209, v172
	global_load_dwordx2 v[172:173], v[206:207], off offset:848
	ds_write2_b64 v199, v[178:179], v[232:233] offset0:63 offset1:198
	s_waitcnt vmcnt(0)
	v_mul_f32_e32 v178, v213, v173
	v_mul_f32_e32 v179, v212, v173
	v_fma_f32 v178, v212, v172, -v178
	v_fmac_f32_e32 v179, v213, v172
	global_load_dwordx2 v[172:173], v[206:207], off offset:2648
	ds_write2_b64 v194, v[178:179], v[210:211] offset0:32 offset1:167
	s_waitcnt vmcnt(0)
	v_mul_f32_e32 v178, v223, v173
	v_mul_f32_e32 v179, v222, v173
	v_fma_f32 v178, v222, v172, -v178
	v_fmac_f32_e32 v179, v223, v172
	v_add_u32_e32 v172, 0x3400, v216
	ds_write2_b64 v172, v[178:179], v[220:221] offset0:1 offset1:136
	global_load_dwordx2 v[172:173], v[224:225], off offset:352
	s_waitcnt vmcnt(0)
	v_mul_f32_e32 v178, v227, v173
	v_mul_f32_e32 v179, v226, v173
	v_fma_f32 v178, v226, v172, -v178
	v_fmac_f32_e32 v179, v227, v172
	global_load_dwordx2 v[172:173], v[224:225], off offset:2152
	ds_write2_b64 v244, v[178:179], v[236:237] offset0:98 offset1:233
	s_waitcnt vmcnt(0)
	v_mul_f32_e32 v178, v175, v173
	v_mul_f32_e32 v179, v174, v173
	v_fma_f32 v178, v174, v172, -v178
	v_fmac_f32_e32 v179, v175, v172
	ds_write_b64 v216, v[178:179] offset:16920
	s_and_saveexec_b64 s[4:5], s[0:1]
	s_cbranch_execz .LBB0_17
; %bb.16:
	global_load_dwordx2 v[178:179], v[176:177], off offset:1440
	v_add_u32_e32 v182, 0x500, v216
	ds_read2_b64 v[172:175], v182 offset0:20 offset1:245
	v_add_u32_e32 v184, 0x1300, v216
	s_waitcnt vmcnt(0) lgkmcnt(0)
	v_mul_f32_e32 v180, v173, v179
	v_mul_f32_e32 v181, v172, v179
	v_fma_f32 v180, v172, v178, -v180
	v_fmac_f32_e32 v181, v173, v178
	global_load_dwordx2 v[172:173], v[176:177], off offset:3240
	s_waitcnt vmcnt(0)
	v_mul_f32_e32 v178, v175, v173
	v_mul_f32_e32 v179, v174, v173
	v_fma_f32 v178, v174, v172, -v178
	v_fmac_f32_e32 v179, v175, v172
	ds_write2_b64 v182, v[180:181], v[178:179] offset0:20 offset1:245
	v_add_co_u32_e32 v178, vcc, s8, v176
	v_addc_co_u32_e32 v179, vcc, 0, v177, vcc
	global_load_dwordx2 v[180:181], v[178:179], off offset:944
	ds_read2_b64 v[172:175], v184 offset0:22 offset1:247
	s_waitcnt vmcnt(0) lgkmcnt(0)
	v_mul_f32_e32 v182, v173, v181
	v_mul_f32_e32 v183, v172, v181
	v_fma_f32 v182, v172, v180, -v182
	v_fmac_f32_e32 v183, v173, v180
	global_load_dwordx2 v[172:173], v[178:179], off offset:2744
	s_waitcnt vmcnt(0)
	v_mul_f32_e32 v178, v175, v173
	v_mul_f32_e32 v179, v174, v173
	v_fma_f32 v178, v174, v172, -v178
	v_fmac_f32_e32 v179, v175, v172
	ds_write2_b64 v184, v[182:183], v[178:179] offset0:22 offset1:247
	v_add_co_u32_e32 v178, vcc, s7, v176
	v_addc_co_u32_e32 v179, vcc, 0, v177, vcc
	global_load_dwordx2 v[180:181], v[178:179], off offset:448
	v_add_u32_e32 v184, 0x2100, v216
	ds_read2_b64 v[172:175], v184 offset0:24 offset1:249
	s_waitcnt vmcnt(0) lgkmcnt(0)
	v_mul_f32_e32 v182, v173, v181
	v_mul_f32_e32 v183, v172, v181
	v_fma_f32 v182, v172, v180, -v182
	v_fmac_f32_e32 v183, v173, v180
	global_load_dwordx2 v[172:173], v[178:179], off offset:2248
	s_waitcnt vmcnt(0)
	v_mul_f32_e32 v180, v175, v173
	global_load_dwordx2 v[178:179], v[178:179], off offset:4048
	v_mul_f32_e32 v181, v174, v173
	v_fma_f32 v180, v174, v172, -v180
	v_fmac_f32_e32 v181, v175, v172
	ds_write2_b64 v184, v[182:183], v[180:181] offset0:24 offset1:249
	v_add_u32_e32 v184, 0x2f00, v216
	ds_read2_b64 v[172:175], v184 offset0:26 offset1:251
	s_waitcnt vmcnt(0) lgkmcnt(0)
	v_mul_f32_e32 v180, v173, v179
	v_mul_f32_e32 v181, v172, v179
	v_fma_f32 v180, v172, v178, -v180
	v_fmac_f32_e32 v181, v173, v178
	v_add_co_u32_e32 v178, vcc, s6, v176
	v_addc_co_u32_e32 v179, vcc, 0, v177, vcc
	global_load_dwordx2 v[172:173], v[178:179], off offset:1752
	s_waitcnt vmcnt(0)
	v_mul_f32_e32 v182, v175, v173
	global_load_dwordx2 v[178:179], v[178:179], off offset:3552
	v_mul_f32_e32 v183, v174, v173
	v_fma_f32 v182, v174, v172, -v182
	v_fmac_f32_e32 v183, v175, v172
	ds_write2_b64 v184, v[180:181], v[182:183] offset0:26 offset1:251
	v_add_u32_e32 v182, 0x3d00, v216
	ds_read2_b64 v[172:175], v182 offset0:28 offset1:253
	s_waitcnt vmcnt(0) lgkmcnt(0)
	v_mul_f32_e32 v180, v173, v179
	v_fma_f32 v180, v172, v178, -v180
	v_mul_f32_e32 v181, v172, v179
	v_add_co_u32_e32 v172, vcc, 0x4000, v176
	v_fmac_f32_e32 v181, v173, v178
	v_addc_co_u32_e32 v173, vcc, 0, v177, vcc
	global_load_dwordx2 v[172:173], v[172:173], off offset:1256
	s_waitcnt vmcnt(0)
	v_mul_f32_e32 v176, v175, v173
	v_mul_f32_e32 v177, v174, v173
	v_fma_f32 v176, v174, v172, -v176
	v_fmac_f32_e32 v177, v175, v172
	ds_write2_b64 v182, v[180:181], v[176:177] offset0:28 offset1:253
.LBB0_17:
	s_or_b64 exec, exec, s[4:5]
	v_add_u32_e32 v172, 0xc00, v216
	s_waitcnt lgkmcnt(0)
	s_barrier
	ds_read2_b64 v[174:177], v216 offset1:90
	ds_read2_b64 v[178:181], v198 offset0:97 offset1:187
	ds_read2_b64 v[198:201], v172 offset0:66 offset1:156
	;; [unrolled: 1-line block ×9, first 2 shown]
	s_and_saveexec_b64 s[4:5], s[0:1]
	s_cbranch_execz .LBB0_19
; %bb.18:
	v_add_u32_e32 v0, 0x500, v216
	ds_read2_b64 v[166:169], v0 offset0:20 offset1:245
	v_add_u32_e32 v0, 0x1300, v216
	ds_read2_b64 v[170:173], v0 offset0:22 offset1:247
	;; [unrolled: 2-line block ×3, first 2 shown]
	v_add_u32_e32 v0, 0x2f00, v216
	v_add_u32_e32 v4, 0x3d00, v216
	ds_read2_b64 v[0:3], v0 offset0:26 offset1:251
	ds_read2_b64 v[4:7], v4 offset0:28 offset1:253
	s_waitcnt lgkmcnt(3)
	v_mov_b32_e32 v164, v172
	v_mov_b32_e32 v165, v173
.LBB0_19:
	s_or_b64 exec, exec, s[4:5]
	s_waitcnt lgkmcnt(3)
	v_add_f32_e32 v173, v202, v206
	v_fma_f32 v173, -0.5, v173, v174
	s_waitcnt lgkmcnt(1)
	v_sub_f32_e32 v220, v199, v211
	v_mov_b32_e32 v231, v173
	v_fmac_f32_e32 v231, 0xbf737871, v220
	v_sub_f32_e32 v221, v203, v207
	v_sub_f32_e32 v222, v198, v202
	;; [unrolled: 1-line block ×3, first 2 shown]
	v_fmac_f32_e32 v173, 0x3f737871, v220
	v_fmac_f32_e32 v231, 0xbf167918, v221
	v_add_f32_e32 v222, v222, v223
	v_fmac_f32_e32 v173, 0x3f167918, v221
	v_fmac_f32_e32 v231, 0x3e9e377a, v222
	;; [unrolled: 1-line block ×3, first 2 shown]
	v_add_f32_e32 v222, v198, v210
	v_add_f32_e32 v172, v174, v198
	v_fma_f32 v174, -0.5, v222, v174
	v_mov_b32_e32 v233, v174
	v_fmac_f32_e32 v233, 0x3f737871, v221
	v_fmac_f32_e32 v174, 0xbf737871, v221
	;; [unrolled: 1-line block ×4, first 2 shown]
	v_add_f32_e32 v220, v175, v199
	v_add_f32_e32 v220, v220, v203
	;; [unrolled: 1-line block ×7, first 2 shown]
	v_fma_f32 v239, -0.5, v220, v175
	v_add_f32_e32 v172, v172, v210
	v_sub_f32_e32 v222, v202, v198
	v_sub_f32_e32 v223, v206, v210
	;; [unrolled: 1-line block ×3, first 2 shown]
	v_mov_b32_e32 v210, v239
	v_fmac_f32_e32 v210, 0x3f737871, v198
	v_sub_f32_e32 v202, v202, v206
	v_sub_f32_e32 v206, v199, v203
	v_sub_f32_e32 v220, v211, v207
	v_fmac_f32_e32 v239, 0xbf737871, v198
	v_fmac_f32_e32 v210, 0x3f167918, v202
	v_add_f32_e32 v206, v206, v220
	v_fmac_f32_e32 v239, 0xbf167918, v202
	v_fmac_f32_e32 v210, 0x3e9e377a, v206
	;; [unrolled: 1-line block ×3, first 2 shown]
	v_add_f32_e32 v206, v199, v211
	v_fma_f32 v175, -0.5, v206, v175
	v_mov_b32_e32 v206, v175
	v_fmac_f32_e32 v206, 0xbf737871, v202
	v_sub_f32_e32 v199, v203, v199
	v_sub_f32_e32 v203, v207, v211
	v_fmac_f32_e32 v175, 0x3f737871, v202
	v_fmac_f32_e32 v206, 0x3f167918, v198
	v_add_f32_e32 v199, v199, v203
	v_fmac_f32_e32 v175, 0xbf167918, v198
	v_fmac_f32_e32 v206, 0x3e9e377a, v199
	;; [unrolled: 1-line block ×3, first 2 shown]
	v_add_f32_e32 v199, v186, v190
	v_fma_f32 v199, -0.5, v199, v178
	s_waitcnt lgkmcnt(0)
	v_sub_f32_e32 v202, v183, v195
	v_mov_b32_e32 v203, v199
	v_fmac_f32_e32 v203, 0xbf737871, v202
	v_sub_f32_e32 v207, v187, v191
	v_sub_f32_e32 v211, v182, v186
	;; [unrolled: 1-line block ×3, first 2 shown]
	v_fmac_f32_e32 v199, 0x3f737871, v202
	v_fmac_f32_e32 v203, 0xbf167918, v207
	v_add_f32_e32 v211, v211, v220
	v_fmac_f32_e32 v199, 0x3f167918, v207
	v_fmac_f32_e32 v203, 0x3e9e377a, v211
	;; [unrolled: 1-line block ×3, first 2 shown]
	v_add_f32_e32 v211, v182, v194
	v_add_f32_e32 v198, v178, v182
	v_fma_f32 v178, -0.5, v211, v178
	v_mov_b32_e32 v211, v178
	v_add_f32_e32 v198, v198, v186
	v_fmac_f32_e32 v211, 0x3f737871, v207
	v_fmac_f32_e32 v178, 0xbf737871, v207
	v_add_f32_e32 v207, v187, v191
	v_add_f32_e32 v198, v198, v190
	v_sub_f32_e32 v220, v186, v182
	v_sub_f32_e32 v221, v190, v194
	v_fma_f32 v207, -0.5, v207, v179
	v_add_f32_e32 v198, v198, v194
	v_fmac_f32_e32 v211, 0xbf167918, v202
	v_add_f32_e32 v220, v220, v221
	v_fmac_f32_e32 v178, 0x3f167918, v202
	v_sub_f32_e32 v182, v182, v194
	v_mov_b32_e32 v194, v207
	v_fmac_f32_e32 v211, 0x3e9e377a, v220
	v_fmac_f32_e32 v178, 0x3e9e377a, v220
	;; [unrolled: 1-line block ×3, first 2 shown]
	v_sub_f32_e32 v186, v186, v190
	v_sub_f32_e32 v190, v183, v187
	;; [unrolled: 1-line block ×3, first 2 shown]
	v_fmac_f32_e32 v207, 0xbf737871, v182
	v_fmac_f32_e32 v194, 0x3f167918, v186
	v_add_f32_e32 v190, v190, v220
	v_fmac_f32_e32 v207, 0xbf167918, v186
	v_fmac_f32_e32 v194, 0x3e9e377a, v190
	;; [unrolled: 1-line block ×3, first 2 shown]
	v_add_f32_e32 v190, v183, v195
	v_add_f32_e32 v202, v179, v183
	v_fma_f32 v179, -0.5, v190, v179
	v_add_f32_e32 v202, v202, v187
	v_mov_b32_e32 v190, v179
	v_sub_f32_e32 v183, v187, v183
	v_sub_f32_e32 v187, v191, v195
	v_fmac_f32_e32 v179, 0x3f737871, v186
	v_add_f32_e32 v183, v183, v187
	v_fmac_f32_e32 v179, 0xbf167918, v182
	v_mul_f32_e32 v187, 0xbf167918, v207
	v_fmac_f32_e32 v179, 0x3e9e377a, v183
	v_fmac_f32_e32 v187, 0xbf4f1bbd, v199
	v_add_f32_e32 v222, v222, v223
	v_fmac_f32_e32 v190, 0xbf737871, v186
	v_mul_f32_e32 v186, 0xbf737871, v179
	v_add_f32_e32 v228, v173, v187
	v_mul_f32_e32 v179, 0xbe9e377a, v179
	v_sub_f32_e32 v238, v173, v187
	v_add_f32_e32 v173, v204, v208
	v_fmac_f32_e32 v174, 0x3e9e377a, v222
	v_fmac_f32_e32 v190, 0x3f167918, v182
	v_mul_f32_e32 v182, 0xbf167918, v194
	v_fmac_f32_e32 v186, 0xbe9e377a, v178
	v_fmac_f32_e32 v179, 0x3f737871, v178
	v_mul_f32_e32 v178, 0xbf4f1bbd, v207
	v_fma_f32 v173, -0.5, v173, v176
	v_fmac_f32_e32 v182, 0x3f4f1bbd, v203
	v_add_f32_e32 v226, v174, v186
	v_add_f32_e32 v227, v175, v179
	v_fmac_f32_e32 v178, 0x3f167918, v199
	v_sub_f32_e32 v236, v174, v186
	v_sub_f32_e32 v237, v175, v179
	v_sub_f32_e32 v174, v201, v213
	v_mov_b32_e32 v175, v173
	v_fmac_f32_e32 v233, 0x3e9e377a, v222
	v_add_f32_e32 v222, v231, v182
	v_add_f32_e32 v229, v239, v178
	v_sub_f32_e32 v232, v231, v182
	v_sub_f32_e32 v239, v239, v178
	v_fmac_f32_e32 v175, 0xbf737871, v174
	v_sub_f32_e32 v178, v205, v209
	v_sub_f32_e32 v179, v200, v204
	;; [unrolled: 1-line block ×3, first 2 shown]
	v_fmac_f32_e32 v173, 0x3f737871, v174
	v_fmac_f32_e32 v175, 0xbf167918, v178
	v_add_f32_e32 v179, v179, v182
	v_fmac_f32_e32 v173, 0x3f167918, v178
	v_fmac_f32_e32 v190, 0x3e9e377a, v183
	;; [unrolled: 1-line block ×4, first 2 shown]
	v_add_f32_e32 v179, v200, v212
	v_add_f32_e32 v220, v172, v198
	v_mul_f32_e32 v183, 0xbf737871, v190
	v_sub_f32_e32 v230, v172, v198
	v_add_f32_e32 v172, v176, v200
	v_fma_f32 v176, -0.5, v179, v176
	v_fmac_f32_e32 v183, 0x3e9e377a, v211
	v_mov_b32_e32 v179, v176
	v_add_f32_e32 v224, v233, v183
	v_sub_f32_e32 v234, v233, v183
	v_fmac_f32_e32 v179, 0x3f737871, v178
	v_sub_f32_e32 v182, v204, v200
	v_sub_f32_e32 v183, v208, v212
	v_fmac_f32_e32 v176, 0xbf737871, v178
	v_add_f32_e32 v178, v205, v209
	v_add_f32_e32 v202, v202, v191
	v_mul_f32_e32 v190, 0x3e9e377a, v190
	v_fmac_f32_e32 v179, 0xbf167918, v174
	v_add_f32_e32 v182, v182, v183
	v_fmac_f32_e32 v176, 0x3f167918, v174
	v_fma_f32 v178, -0.5, v178, v177
	v_add_f32_e32 v202, v202, v195
	v_fmac_f32_e32 v190, 0x3f737871, v211
	v_fmac_f32_e32 v179, 0x3e9e377a, v182
	v_fmac_f32_e32 v176, 0x3e9e377a, v182
	v_sub_f32_e32 v182, v200, v212
	v_mov_b32_e32 v183, v178
	v_add_f32_e32 v221, v235, v202
	v_add_f32_e32 v225, v206, v190
	v_sub_f32_e32 v231, v235, v202
	v_sub_f32_e32 v235, v206, v190
	v_fmac_f32_e32 v183, 0x3f737871, v182
	v_sub_f32_e32 v186, v204, v208
	v_sub_f32_e32 v187, v201, v205
	;; [unrolled: 1-line block ×3, first 2 shown]
	v_fmac_f32_e32 v178, 0xbf737871, v182
	v_fmac_f32_e32 v183, 0x3f167918, v186
	v_add_f32_e32 v187, v187, v190
	v_fmac_f32_e32 v178, 0xbf167918, v186
	v_fmac_f32_e32 v183, 0x3e9e377a, v187
	;; [unrolled: 1-line block ×3, first 2 shown]
	v_add_f32_e32 v187, v201, v213
	v_mul_f32_e32 v191, 0x3f167918, v203
	v_add_f32_e32 v174, v177, v201
	v_fmac_f32_e32 v177, -0.5, v187
	v_fmac_f32_e32 v191, 0x3f4f1bbd, v194
	v_mov_b32_e32 v187, v177
	v_add_f32_e32 v223, v210, v191
	v_sub_f32_e32 v233, v210, v191
	v_fmac_f32_e32 v187, 0xbf737871, v186
	v_sub_f32_e32 v190, v205, v201
	v_sub_f32_e32 v191, v209, v213
	v_fmac_f32_e32 v177, 0x3f737871, v186
	v_add_f32_e32 v186, v188, v192
	v_fmac_f32_e32 v187, 0x3f167918, v182
	v_add_f32_e32 v190, v190, v191
	v_fmac_f32_e32 v177, 0xbf167918, v182
	v_fma_f32 v186, -0.5, v186, v180
	v_fmac_f32_e32 v187, 0x3e9e377a, v190
	v_fmac_f32_e32 v177, 0x3e9e377a, v190
	v_sub_f32_e32 v190, v185, v197
	v_mov_b32_e32 v191, v186
	v_fmac_f32_e32 v191, 0xbf737871, v190
	v_sub_f32_e32 v194, v189, v193
	v_sub_f32_e32 v195, v184, v188
	;; [unrolled: 1-line block ×3, first 2 shown]
	v_fmac_f32_e32 v186, 0x3f737871, v190
	v_fmac_f32_e32 v191, 0xbf167918, v194
	v_add_f32_e32 v195, v195, v198
	v_fmac_f32_e32 v186, 0x3f167918, v194
	v_fmac_f32_e32 v191, 0x3e9e377a, v195
	;; [unrolled: 1-line block ×3, first 2 shown]
	v_add_f32_e32 v195, v184, v196
	v_add_f32_e32 v182, v180, v184
	v_fma_f32 v180, -0.5, v195, v180
	v_mov_b32_e32 v195, v180
	v_add_f32_e32 v182, v182, v188
	v_fmac_f32_e32 v195, 0x3f737871, v194
	v_fmac_f32_e32 v180, 0xbf737871, v194
	v_add_f32_e32 v194, v189, v193
	v_add_f32_e32 v182, v182, v192
	v_sub_f32_e32 v198, v188, v184
	v_sub_f32_e32 v199, v192, v196
	v_fma_f32 v194, -0.5, v194, v181
	v_add_f32_e32 v182, v182, v196
	v_fmac_f32_e32 v195, 0xbf167918, v190
	v_add_f32_e32 v198, v198, v199
	v_fmac_f32_e32 v180, 0x3f167918, v190
	v_sub_f32_e32 v184, v184, v196
	v_mov_b32_e32 v196, v194
	v_fmac_f32_e32 v195, 0x3e9e377a, v198
	v_fmac_f32_e32 v180, 0x3e9e377a, v198
	;; [unrolled: 1-line block ×3, first 2 shown]
	v_sub_f32_e32 v188, v188, v192
	v_sub_f32_e32 v192, v185, v189
	;; [unrolled: 1-line block ×3, first 2 shown]
	v_fmac_f32_e32 v194, 0xbf737871, v184
	v_fmac_f32_e32 v196, 0x3f167918, v188
	v_add_f32_e32 v192, v192, v198
	v_fmac_f32_e32 v194, 0xbf167918, v188
	v_fmac_f32_e32 v196, 0x3e9e377a, v192
	v_fmac_f32_e32 v194, 0x3e9e377a, v192
	v_add_f32_e32 v192, v185, v197
	v_add_f32_e32 v190, v181, v185
	v_fmac_f32_e32 v181, -0.5, v192
	v_add_f32_e32 v172, v172, v204
	v_add_f32_e32 v190, v190, v189
	v_mov_b32_e32 v192, v181
	v_sub_f32_e32 v185, v189, v185
	v_sub_f32_e32 v189, v193, v197
	v_fmac_f32_e32 v181, 0x3f737871, v188
	v_add_f32_e32 v172, v172, v208
	v_add_f32_e32 v185, v185, v189
	v_fmac_f32_e32 v181, 0xbf167918, v184
	v_add_f32_e32 v172, v172, v212
	v_fmac_f32_e32 v192, 0xbf737871, v188
	v_fmac_f32_e32 v181, 0x3e9e377a, v185
	;; [unrolled: 1-line block ×3, first 2 shown]
	v_add_f32_e32 v198, v172, v182
	v_mul_f32_e32 v188, 0xbf737871, v181
	v_mul_f32_e32 v181, 0xbe9e377a, v181
	v_sub_f32_e32 v208, v172, v182
	v_add_f32_e32 v172, v166, v170
	v_fmac_f32_e32 v192, 0x3e9e377a, v185
	v_fmac_f32_e32 v188, 0xbe9e377a, v180
	;; [unrolled: 1-line block ×3, first 2 shown]
	v_mul_f32_e32 v180, 0xbf4f1bbd, v194
	v_add_f32_e32 v172, v172, v160
	v_mul_f32_e32 v185, 0xbf737871, v192
	v_fmac_f32_e32 v180, 0x3f167918, v186
	v_add_f32_e32 v172, v172, v0
	v_fmac_f32_e32 v185, 0x3e9e377a, v195
	v_add_f32_e32 v207, v178, v180
	v_sub_f32_e32 v243, v178, v180
	v_add_f32_e32 v180, v172, v4
	v_add_f32_e32 v172, v160, v0
	v_add_f32_e32 v202, v179, v185
	v_mul_f32_e32 v189, 0xbf167918, v194
	v_sub_f32_e32 v212, v179, v185
	v_fma_f32 v185, -0.5, v172, v166
	v_add_f32_e32 v174, v174, v205
	v_fmac_f32_e32 v189, 0xbf4f1bbd, v186
	v_add_f32_e32 v205, v177, v181
	v_sub_f32_e32 v241, v177, v181
	v_sub_f32_e32 v178, v171, v5
	v_mov_b32_e32 v181, v185
	v_add_f32_e32 v206, v173, v189
	v_sub_f32_e32 v242, v173, v189
	v_fmac_f32_e32 v181, 0xbf737871, v178
	v_sub_f32_e32 v182, v161, v1
	v_sub_f32_e32 v172, v170, v160
	;; [unrolled: 1-line block ×3, first 2 shown]
	v_fmac_f32_e32 v185, 0x3f737871, v178
	v_fmac_f32_e32 v181, 0xbf167918, v182
	v_add_f32_e32 v172, v172, v173
	v_fmac_f32_e32 v185, 0x3f167918, v182
	v_mul_f32_e32 v184, 0xbf167918, v196
	v_fmac_f32_e32 v181, 0x3e9e377a, v172
	v_fmac_f32_e32 v185, 0x3e9e377a, v172
	v_add_f32_e32 v172, v167, v171
	v_fmac_f32_e32 v184, 0x3f4f1bbd, v191
	v_mul_f32_e32 v191, 0x3f167918, v191
	v_add_f32_e32 v172, v172, v161
	v_fmac_f32_e32 v191, 0x3f4f1bbd, v196
	v_add_f32_e32 v172, v172, v1
	v_add_f32_e32 v201, v183, v191
	v_mul_f32_e32 v192, 0x3e9e377a, v192
	v_sub_f32_e32 v211, v183, v191
	v_add_f32_e32 v183, v172, v5
	v_add_f32_e32 v172, v161, v1
	v_fmac_f32_e32 v192, 0x3f737871, v195
	v_fma_f32 v195, -0.5, v172, v167
	v_add_f32_e32 v200, v175, v184
	v_sub_f32_e32 v210, v175, v184
	v_sub_f32_e32 v179, v170, v4
	v_mov_b32_e32 v184, v195
	v_add_f32_e32 v204, v176, v188
	v_sub_f32_e32 v240, v176, v188
	v_fmac_f32_e32 v184, 0x3f737871, v179
	v_sub_f32_e32 v188, v160, v0
	v_sub_f32_e32 v172, v171, v161
	;; [unrolled: 1-line block ×3, first 2 shown]
	v_fmac_f32_e32 v195, 0xbf737871, v179
	v_fmac_f32_e32 v184, 0x3f167918, v188
	v_add_f32_e32 v172, v172, v173
	v_fmac_f32_e32 v195, 0xbf167918, v188
	v_fmac_f32_e32 v184, 0x3e9e377a, v172
	;; [unrolled: 1-line block ×3, first 2 shown]
	v_add_f32_e32 v172, v168, v164
	v_add_f32_e32 v172, v172, v162
	;; [unrolled: 1-line block ×9, first 2 shown]
	v_fma_f32 v173, -0.5, v172, v168
	v_add_f32_e32 v199, v174, v190
	v_sub_f32_e32 v209, v174, v190
	v_sub_f32_e32 v190, v165, v7
	v_mov_b32_e32 v174, v173
	v_fmac_f32_e32 v174, 0xbf737871, v190
	v_sub_f32_e32 v191, v163, v3
	v_sub_f32_e32 v172, v164, v162
	;; [unrolled: 1-line block ×3, first 2 shown]
	v_fmac_f32_e32 v173, 0x3f737871, v190
	v_fmac_f32_e32 v174, 0xbf167918, v191
	v_add_f32_e32 v172, v172, v175
	v_fmac_f32_e32 v173, 0x3f167918, v191
	v_fmac_f32_e32 v174, 0x3e9e377a, v172
	;; [unrolled: 1-line block ×3, first 2 shown]
	v_add_f32_e32 v172, v169, v165
	v_add_f32_e32 v172, v172, v163
	;; [unrolled: 1-line block ×4, first 2 shown]
	v_sub_f32_e32 v213, v187, v192
	v_add_f32_e32 v187, v172, v7
	v_add_f32_e32 v172, v163, v3
	v_fma_f32 v175, -0.5, v172, v169
	v_sub_f32_e32 v193, v164, v6
	v_mov_b32_e32 v176, v175
	v_fmac_f32_e32 v176, 0x3f737871, v193
	v_sub_f32_e32 v194, v162, v2
	v_sub_f32_e32 v172, v165, v163
	;; [unrolled: 1-line block ×3, first 2 shown]
	v_fmac_f32_e32 v175, 0xbf737871, v193
	v_fmac_f32_e32 v176, 0x3f167918, v194
	v_add_f32_e32 v172, v172, v177
	v_fmac_f32_e32 v175, 0xbf167918, v194
	v_fmac_f32_e32 v176, 0x3e9e377a, v172
	;; [unrolled: 1-line block ×3, first 2 shown]
	v_mul_f32_e32 v189, 0xbf167918, v176
	v_mul_f32_e32 v196, 0xbf167918, v175
	;; [unrolled: 1-line block ×4, first 2 shown]
	v_fmac_f32_e32 v189, 0x3f4f1bbd, v174
	v_fmac_f32_e32 v196, 0xbf4f1bbd, v173
	;; [unrolled: 1-line block ×4, first 2 shown]
	v_add_f32_e32 v172, v185, v196
	v_add_f32_e32 v173, v195, v197
	v_sub_f32_e32 v174, v180, v186
	v_sub_f32_e32 v176, v181, v189
	;; [unrolled: 1-line block ×4, first 2 shown]
	s_barrier
	ds_write_b128 v218, v[220:223]
	ds_write_b128 v218, v[224:227] offset:16
	ds_write_b128 v218, v[228:231] offset:32
	;; [unrolled: 1-line block ×4, first 2 shown]
	ds_write_b128 v219, v[198:201]
	ds_write_b128 v219, v[202:205] offset:16
	ds_write_b128 v219, v[206:209] offset:32
	;; [unrolled: 1-line block ×4, first 2 shown]
	s_and_saveexec_b64 s[4:5], s[0:1]
	s_cbranch_execz .LBB0_21
; %bb.20:
	v_sub_f32_e32 v2, v2, v6
	v_add_f32_e32 v6, v164, v6
	v_fmac_f32_e32 v168, -0.5, v6
	v_sub_f32_e32 v161, v161, v171
	v_sub_f32_e32 v1, v1, v5
	v_mov_b32_e32 v6, v168
	v_add_f32_e32 v1, v161, v1
	v_sub_f32_e32 v161, v162, v164
	v_fmac_f32_e32 v6, 0xbf737871, v191
	v_fmac_f32_e32 v168, 0x3f737871, v191
	v_add_f32_e32 v2, v161, v2
	v_fmac_f32_e32 v6, 0x3f167918, v190
	v_fmac_f32_e32 v168, 0xbf167918, v190
	;; [unrolled: 1-line block ×4, first 2 shown]
	v_sub_f32_e32 v2, v160, v170
	buffer_load_dword v160, off, s[20:23], 0 offset:224 ; 4-byte Folded Reload
	v_sub_f32_e32 v3, v3, v7
	v_add_f32_e32 v7, v165, v7
	v_fmac_f32_e32 v169, -0.5, v7
	v_sub_f32_e32 v0, v0, v4
	v_add_f32_e32 v5, v171, v5
	v_mov_b32_e32 v7, v169
	v_add_f32_e32 v0, v2, v0
	v_add_f32_e32 v2, v170, v4
	v_fmac_f32_e32 v167, -0.5, v5
	v_sub_f32_e32 v161, v163, v165
	v_fmac_f32_e32 v7, 0x3f737871, v194
	v_fmac_f32_e32 v166, -0.5, v2
	v_mov_b32_e32 v5, v167
	v_add_f32_e32 v3, v161, v3
	v_fmac_f32_e32 v7, 0xbf167918, v193
	v_fmac_f32_e32 v169, 0xbf737871, v194
	v_mov_b32_e32 v2, v166
	v_fmac_f32_e32 v5, 0x3f737871, v188
	v_fmac_f32_e32 v7, 0x3e9e377a, v3
	;; [unrolled: 1-line block ×7, first 2 shown]
	v_mul_f32_e32 v161, 0xbe9e377a, v7
	v_fmac_f32_e32 v167, 0x3f167918, v179
	v_fmac_f32_e32 v169, 0x3e9e377a, v3
	;; [unrolled: 1-line block ×3, first 2 shown]
	v_mul_f32_e32 v4, 0xbf737871, v7
	v_fmac_f32_e32 v166, 0xbf167918, v178
	v_fmac_f32_e32 v5, 0x3e9e377a, v1
	;; [unrolled: 1-line block ×4, first 2 shown]
	v_mul_f32_e32 v1, 0x3e9e377a, v169
	v_fmac_f32_e32 v2, 0x3e9e377a, v0
	v_fmac_f32_e32 v4, 0xbe9e377a, v6
	;; [unrolled: 1-line block ×3, first 2 shown]
	v_mul_f32_e32 v0, 0xbf737871, v169
	v_sub_f32_e32 v197, v195, v197
	v_sub_f32_e32 v195, v5, v161
	v_fmac_f32_e32 v1, 0x3f737871, v168
	v_sub_f32_e32 v194, v2, v4
	v_fmac_f32_e32 v0, 0x3e9e377a, v168
	v_add_f32_e32 v3, v5, v161
	v_add_f32_e32 v7, v184, v192
	;; [unrolled: 1-line block ×6, first 2 shown]
	v_sub_f32_e32 v179, v167, v1
	v_sub_f32_e32 v196, v185, v196
	;; [unrolled: 1-line block ×3, first 2 shown]
	v_add_f32_e32 v1, v167, v1
	v_add_f32_e32 v0, v166, v0
	s_waitcnt vmcnt(0)
	v_lshlrev_b32_e32 v160, 3, v160
	ds_write_b128 v160, v[4:7]
	ds_write_b128 v160, v[0:3] offset:16
	ds_write_b128 v160, v[172:175] offset:32
	;; [unrolled: 1-line block ×4, first 2 shown]
.LBB0_21:
	s_or_b64 exec, exec, s[4:5]
	v_add_u32_e32 v0, 0x1400, v216
	s_waitcnt lgkmcnt(0)
	s_barrier
	ds_read2_b64 v[202:205], v0 offset0:110 offset1:200
	v_add_u32_e32 v0, 0x2c00, v216
	ds_read2_b64 v[198:201], v0 offset0:92 offset1:182
	v_add_u32_e32 v0, 0x400, v216
	;; [unrolled: 2-line block ×7, first 2 shown]
	v_add_u32_e32 v168, 0x2800, v216
	ds_read2_b64 v[182:185], v0 offset0:68 offset1:158
	v_add_u32_e32 v0, 0x1000, v216
	ds_read2_b64 v[178:181], v168 offset0:10 offset1:100
	v_add_u32_e32 v168, 0x3c00, v216
	ds_read2_b64 v[164:167], v216 offset1:90
	ds_read2_b64 v[0:3], v0 offset0:28 offset1:118
	ds_read2_b64 v[168:171], v168 offset0:120 offset1:210
	s_and_saveexec_b64 s[4:5], s[2:3]
	s_cbranch_execz .LBB0_23
; %bb.22:
	ds_read_b64 v[172:173], v216 offset:5760
	ds_read_b64 v[174:175], v216 offset:11760
	ds_read_b64 v[176:177], v216 offset:17760
.LBB0_23:
	s_or_b64 exec, exec, s[4:5]
	s_waitcnt lgkmcnt(11)
	v_mul_f32_e32 v206, v13, v203
	v_mul_f32_e32 v13, v13, v202
	v_fmac_f32_e32 v206, v12, v202
	v_fma_f32 v202, v12, v203, -v13
	s_waitcnt lgkmcnt(10)
	v_mul_f32_e32 v203, v15, v199
	v_fmac_f32_e32 v203, v14, v198
	v_mul_f32_e32 v12, v15, v198
	v_mul_f32_e32 v198, v9, v205
	;; [unrolled: 1-line block ×3, first 2 shown]
	v_fma_f32 v15, v14, v199, -v12
	v_fmac_f32_e32 v198, v8, v204
	v_fma_f32 v199, v8, v205, -v9
	v_mul_f32_e32 v204, v11, v201
	v_mul_f32_e32 v8, v11, v200
	v_fmac_f32_e32 v204, v10, v200
	v_fma_f32 v200, v10, v201, -v8
	s_waitcnt lgkmcnt(8)
	v_mul_f32_e32 v201, v17, v195
	v_mul_f32_e32 v8, v17, v194
	v_fmac_f32_e32 v201, v16, v194
	v_fma_f32 v194, v16, v195, -v8
	s_waitcnt lgkmcnt(7)
	v_mul_f32_e32 v195, v19, v191
	v_mul_f32_e32 v8, v19, v190
	v_fmac_f32_e32 v195, v18, v190
	v_fma_f32 v190, v18, v191, -v8
	v_mul_f32_e32 v191, v21, v197
	v_mul_f32_e32 v8, v21, v196
	v_fmac_f32_e32 v191, v20, v196
	v_fma_f32 v196, v20, v197, -v8
	;; [unrolled: 4-line block ×3, first 2 shown]
	s_waitcnt lgkmcnt(5)
	v_mul_f32_e32 v193, v29, v187
	v_mul_f32_e32 v8, v29, v186
	v_fmac_f32_e32 v193, v28, v186
	v_fma_f32 v186, v28, v187, -v8
	s_waitcnt lgkmcnt(4)
	v_mul_f32_e32 v187, v31, v183
	v_mul_f32_e32 v8, v31, v182
	v_fmac_f32_e32 v187, v30, v182
	v_fma_f32 v182, v30, v183, -v8
	v_mul_f32_e32 v183, v25, v189
	v_mul_f32_e32 v8, v25, v188
	v_add_f32_e32 v25, v194, v190
	v_fma_f32 v25, -0.5, v25, v161
	v_fmac_f32_e32 v183, v24, v188
	v_fma_f32 v188, v24, v189, -v8
	v_mul_f32_e32 v189, v27, v185
	v_mul_f32_e32 v8, v27, v184
	v_sub_f32_e32 v28, v201, v195
	v_mov_b32_e32 v27, v25
	v_add_f32_e32 v29, v191, v197
	v_fmac_f32_e32 v27, 0x3f5db3d7, v28
	v_fmac_f32_e32 v25, 0xbf5db3d7, v28
	v_add_f32_e32 v28, v162, v191
	v_fma_f32 v162, -0.5, v29, v162
	v_sub_f32_e32 v29, v196, v192
	v_mov_b32_e32 v30, v162
	v_add_f32_e32 v31, v196, v192
	v_fmac_f32_e32 v189, v26, v184
	v_fma_f32 v184, v26, v185, -v8
	s_waitcnt lgkmcnt(3)
	v_mul_f32_e32 v185, v33, v179
	v_mul_f32_e32 v8, v33, v178
	v_fmac_f32_e32 v30, 0xbf5db3d7, v29
	v_fmac_f32_e32 v162, 0x3f5db3d7, v29
	v_add_f32_e32 v29, v163, v196
	v_fmac_f32_e32 v163, -0.5, v31
	v_fmac_f32_e32 v185, v32, v178
	v_fma_f32 v178, v32, v179, -v8
	v_sub_f32_e32 v32, v191, v197
	v_mov_b32_e32 v31, v163
	v_add_f32_e32 v33, v193, v187
	s_waitcnt lgkmcnt(0)
	v_mul_f32_e32 v179, v35, v169
	v_mul_f32_e32 v8, v35, v168
	v_add_f32_e32 v13, v206, v203
	v_fmac_f32_e32 v31, 0x3f5db3d7, v32
	v_fmac_f32_e32 v163, 0xbf5db3d7, v32
	v_add_f32_e32 v32, v4, v193
	v_fma_f32 v4, -0.5, v33, v4
	v_fmac_f32_e32 v179, v34, v168
	v_fma_f32 v168, v34, v169, -v8
	v_fma_f32 v14, -0.5, v13, v164
	v_sub_f32_e32 v33, v186, v182
	v_mov_b32_e32 v34, v4
	v_add_f32_e32 v35, v186, v182
	v_mul_f32_e32 v205, v37, v181
	v_mul_f32_e32 v8, v37, v180
	v_sub_f32_e32 v13, v202, v15
	v_mov_b32_e32 v16, v14
	v_fmac_f32_e32 v34, 0xbf5db3d7, v33
	v_fmac_f32_e32 v4, 0x3f5db3d7, v33
	v_add_f32_e32 v33, v5, v186
	v_fma_f32 v5, -0.5, v35, v5
	v_fmac_f32_e32 v205, v36, v180
	v_fma_f32 v180, v36, v181, -v8
	v_fmac_f32_e32 v16, 0xbf5db3d7, v13
	v_fmac_f32_e32 v14, 0x3f5db3d7, v13
	v_add_f32_e32 v13, v165, v202
	v_sub_f32_e32 v36, v193, v187
	v_mov_b32_e32 v35, v5
	v_add_f32_e32 v37, v183, v189
	v_mul_f32_e32 v181, v39, v171
	v_mul_f32_e32 v8, v39, v170
	v_add_f32_e32 v13, v13, v15
	v_add_f32_e32 v15, v202, v15
	v_fmac_f32_e32 v35, 0x3f5db3d7, v36
	v_fmac_f32_e32 v5, 0xbf5db3d7, v36
	v_add_f32_e32 v36, v6, v183
	v_fma_f32 v6, -0.5, v37, v6
	v_fmac_f32_e32 v181, v38, v170
	v_fma_f32 v171, v38, v171, -v8
	v_fma_f32 v15, -0.5, v15, v165
	v_sub_f32_e32 v37, v188, v184
	v_mov_b32_e32 v38, v6
	v_add_f32_e32 v39, v188, v184
	v_mul_f32_e32 v8, v41, v175
	v_mul_f32_e32 v9, v41, v174
	v_sub_f32_e32 v18, v206, v203
	v_mov_b32_e32 v17, v15
	v_add_f32_e32 v19, v198, v204
	v_fmac_f32_e32 v38, 0xbf5db3d7, v37
	v_fmac_f32_e32 v6, 0x3f5db3d7, v37
	v_add_f32_e32 v37, v7, v188
	v_fmac_f32_e32 v7, -0.5, v39
	v_fmac_f32_e32 v8, v40, v174
	v_fma_f32 v10, v40, v175, -v9
	v_fmac_f32_e32 v17, 0x3f5db3d7, v18
	v_fmac_f32_e32 v15, 0xbf5db3d7, v18
	v_add_f32_e32 v18, v166, v198
	v_fma_f32 v166, -0.5, v19, v166
	v_sub_f32_e32 v40, v183, v189
	v_mov_b32_e32 v39, v7
	v_add_f32_e32 v41, v185, v179
	v_mul_f32_e32 v9, v43, v177
	v_mul_f32_e32 v11, v43, v176
	v_sub_f32_e32 v19, v199, v200
	v_mov_b32_e32 v20, v166
	v_add_f32_e32 v21, v199, v200
	v_fmac_f32_e32 v39, 0x3f5db3d7, v40
	v_fmac_f32_e32 v7, 0xbf5db3d7, v40
	v_add_f32_e32 v40, v0, v185
	v_fma_f32 v0, -0.5, v41, v0
	v_fmac_f32_e32 v9, v42, v176
	v_fma_f32 v11, v42, v177, -v11
	v_fmac_f32_e32 v20, 0xbf5db3d7, v19
	v_fmac_f32_e32 v166, 0x3f5db3d7, v19
	v_add_f32_e32 v19, v167, v199
	v_fmac_f32_e32 v167, -0.5, v21
	v_sub_f32_e32 v41, v178, v168
	v_mov_b32_e32 v42, v0
	v_add_f32_e32 v43, v178, v168
	v_sub_f32_e32 v22, v198, v204
	v_mov_b32_e32 v21, v167
	v_add_f32_e32 v23, v201, v195
	v_fmac_f32_e32 v42, 0xbf5db3d7, v41
	v_fmac_f32_e32 v0, 0x3f5db3d7, v41
	v_add_f32_e32 v41, v1, v178
	v_fma_f32 v1, -0.5, v43, v1
	v_fmac_f32_e32 v21, 0x3f5db3d7, v22
	v_fmac_f32_e32 v167, 0xbf5db3d7, v22
	v_add_f32_e32 v22, v160, v201
	v_fma_f32 v24, -0.5, v23, v160
	v_sub_f32_e32 v160, v185, v179
	v_mov_b32_e32 v43, v1
	v_fmac_f32_e32 v43, 0x3f5db3d7, v160
	v_fmac_f32_e32 v1, 0xbf5db3d7, v160
	v_add_f32_e32 v160, v2, v205
	v_add_f32_e32 v41, v41, v168
	;; [unrolled: 1-line block ×4, first 2 shown]
	v_fma_f32 v2, -0.5, v160, v2
	v_sub_f32_e32 v160, v180, v171
	v_mov_b32_e32 v170, v2
	v_fmac_f32_e32 v170, 0xbf5db3d7, v160
	v_fmac_f32_e32 v2, 0x3f5db3d7, v160
	v_add_f32_e32 v160, v3, v180
	v_add_f32_e32 v169, v160, v171
	;; [unrolled: 1-line block ×3, first 2 shown]
	v_fmac_f32_e32 v3, -0.5, v160
	v_sub_f32_e32 v160, v205, v181
	v_mov_b32_e32 v171, v3
	v_fmac_f32_e32 v171, 0x3f5db3d7, v160
	v_fmac_f32_e32 v3, 0xbf5db3d7, v160
	v_add_f32_e32 v160, v8, v9
	v_sub_f32_e32 v23, v194, v190
	v_mov_b32_e32 v26, v24
	v_fma_f32 v160, -0.5, v160, v172
	v_add_f32_e32 v12, v164, v206
	v_fmac_f32_e32 v26, 0xbf5db3d7, v23
	v_fmac_f32_e32 v24, 0x3f5db3d7, v23
	v_add_f32_e32 v23, v161, v194
	v_sub_f32_e32 v161, v10, v11
	v_mov_b32_e32 v164, v160
	v_fmac_f32_e32 v164, 0xbf5db3d7, v161
	v_fmac_f32_e32 v160, 0x3f5db3d7, v161
	v_add_f32_e32 v161, v10, v11
	v_fma_f32 v161, -0.5, v161, v173
	v_sub_f32_e32 v174, v8, v9
	v_mov_b32_e32 v165, v161
	v_fmac_f32_e32 v165, 0x3f5db3d7, v174
	v_fmac_f32_e32 v161, 0xbf5db3d7, v174
	s_barrier
	buffer_load_dword v174, off, s[20:23], 0 offset:128 ; 4-byte Folded Reload
	v_add_f32_e32 v12, v12, v203
	s_waitcnt vmcnt(0)
	ds_write2_b64 v174, v[12:13], v[16:17] offset1:10
	ds_write_b64 v174, v[14:15] offset:160
	buffer_load_dword v12, off, s[20:23], 0 offset:132 ; 4-byte Folded Reload
	v_add_f32_e32 v18, v18, v204
	v_add_f32_e32 v19, v19, v200
	s_waitcnt vmcnt(0)
	ds_write2_b64 v12, v[18:19], v[20:21] offset1:10
	ds_write_b64 v12, v[166:167] offset:160
	buffer_load_dword v12, off, s[20:23], 0 offset:136 ; 4-byte Folded Reload
	v_add_f32_e32 v22, v22, v195
	;; [unrolled: 6-line block ×6, first 2 shown]
	s_waitcnt vmcnt(0)
	ds_write2_b64 v4, v[40:41], v[42:43] offset1:10
	ds_write_b64 v4, v[0:1] offset:160
	buffer_load_dword v0, off, s[20:23], 0 offset:156 ; 4-byte Folded Reload
	s_waitcnt vmcnt(0)
	ds_write2_b64 v0, v[168:169], v[170:171] offset1:10
	ds_write_b64 v0, v[2:3] offset:160
	s_and_saveexec_b64 s[4:5], s[2:3]
	s_cbranch_execz .LBB0_25
; %bb.24:
	buffer_load_dword v2, off, s[20:23], 0 offset:120 ; 4-byte Folded Reload
	buffer_load_dword v3, off, s[20:23], 0 offset:124 ; 4-byte Folded Reload
	v_add_f32_e32 v0, v173, v10
	v_add_f32_e32 v1, v0, v11
	;; [unrolled: 1-line block ×4, first 2 shown]
	s_waitcnt vmcnt(0)
	v_mad_legacy_u16 v2, v2, 30, v3
	v_lshlrev_b32_e32 v2, 3, v2
	ds_write2_b64 v2, v[0:1], v[164:165] offset1:10
	ds_write_b64 v2, v[160:161] offset:160
.LBB0_25:
	s_or_b64 exec, exec, s[4:5]
	v_add_u32_e32 v16, 0x800, v216
	s_waitcnt lgkmcnt(0)
	s_barrier
	ds_read2_b64 v[0:3], v16 offset0:104 offset1:194
	v_add_u32_e32 v20, 0x1800, v216
	ds_read2_b64 v[12:15], v20 offset0:132 offset1:222
	v_add_u32_e32 v8, 0x2400, v216
	;; [unrolled: 2-line block ×4, first 2 shown]
	ds_read2_b64 v[33:36], v18 offset0:28 offset1:118
	s_waitcnt lgkmcnt(4)
	v_mul_f32_e32 v43, v49, v3
	v_add_u32_e32 v19, 0x2800, v216
	v_fmac_f32_e32 v43, v48, v2
	v_mul_f32_e32 v2, v49, v2
	ds_read2_b64 v[37:40], v19 offset0:160 offset1:250
	v_fma_f32 v48, v48, v3, -v2
	s_waitcnt lgkmcnt(4)
	v_mul_f32_e32 v49, v51, v13
	v_mul_f32_e32 v2, v51, v12
	v_fmac_f32_e32 v49, v50, v12
	v_fma_f32 v50, v50, v13, -v2
	s_waitcnt lgkmcnt(3)
	v_mul_f32_e32 v51, v45, v28
	v_mul_f32_e32 v2, v45, v27
	v_add_u32_e32 v21, 0x2000, v216
	v_fmac_f32_e32 v51, v44, v27
	v_fma_f32 v27, v44, v28, -v2
	s_waitcnt lgkmcnt(2)
	v_mul_f32_e32 v28, v47, v30
	v_mul_f32_e32 v2, v47, v29
	ds_read2_b64 v[166:169], v21 offset0:56 offset1:146
	v_fmac_f32_e32 v28, v46, v29
	v_fma_f32 v29, v46, v30, -v2
	s_waitcnt lgkmcnt(2)
	v_mul_f32_e32 v2, v57, v33
	v_add_u32_e32 v162, 0x3c00, v216
	v_fma_f32 v45, v56, v34, -v2
	v_mul_f32_e32 v2, v59, v14
	ds_read2_b64 v[170:173], v162 offset0:60 offset1:150
	v_add_u32_e32 v24, 0x1400, v216
	v_fma_f32 v46, v58, v15, -v2
	s_waitcnt lgkmcnt(2)
	v_mul_f32_e32 v47, v53, v38
	v_mul_f32_e32 v2, v53, v37
	ds_read2_b64 v[174:177], v24 offset0:80 offset1:170
	v_fmac_f32_e32 v47, v52, v37
	v_fma_f32 v37, v52, v38, -v2
	v_mul_f32_e32 v2, v55, v31
	v_mul_f32_e32 v38, v55, v32
	v_fma_f32 v52, v54, v32, -v2
	v_mul_f32_e32 v2, v69, v35
	v_add_u32_e32 v22, 0x400, v216
	v_add_u32_e32 v23, 0x3000, v216
	v_mul_f32_e32 v44, v57, v34
	v_fmac_f32_e32 v38, v54, v31
	v_fma_f32 v54, v68, v36, -v2
	s_waitcnt lgkmcnt(2)
	v_mul_f32_e32 v2, v71, v166
	ds_read2_b64 v[4:7], v216 offset1:90
	ds_read2_b64 v[8:11], v22 offset0:52 offset1:142
	ds_read2_b64 v[178:181], v23 offset0:84 offset1:174
	ds_read_b64 v[41:42], v216 offset:17280
	v_fmac_f32_e32 v44, v56, v33
	v_mul_f32_e32 v34, v59, v15
	v_fma_f32 v56, v70, v167, -v2
	v_mul_f32_e32 v2, v65, v39
	v_fmac_f32_e32 v34, v58, v14
	v_fma_f32 v58, v64, v40, -v2
	s_waitcnt lgkmcnt(5)
	v_mul_f32_e32 v2, v67, v170
	v_fma_f32 v59, v66, v171, -v2
	s_waitcnt lgkmcnt(4)
	v_mul_f32_e32 v2, v77, v174
	v_mul_f32_e32 v57, v65, v40
	v_fma_f32 v65, v76, v175, -v2
	v_mul_f32_e32 v2, v79, v168
	v_mul_f32_e32 v55, v71, v167
	;; [unrolled: 1-line block ×3, first 2 shown]
	v_fma_f32 v67, v78, v169, -v2
	s_waitcnt lgkmcnt(1)
	v_mul_f32_e32 v2, v73, v178
	v_add_f32_e32 v3, v49, v51
	v_mul_f32_e32 v53, v69, v36
	v_fmac_f32_e32 v55, v70, v166
	v_fma_f32 v69, v72, v179, -v2
	v_mul_f32_e32 v70, v75, v173
	v_mul_f32_e32 v2, v75, v172
	v_fma_f32 v12, -0.5, v3, v4
	v_fmac_f32_e32 v70, v74, v172
	v_fma_f32 v71, v74, v173, -v2
	v_mul_f32_e32 v2, v85, v176
	v_mul_f32_e32 v74, v87, v26
	v_sub_f32_e32 v3, v48, v29
	v_mov_b32_e32 v14, v12
	v_fmac_f32_e32 v53, v68, v35
	v_mul_f32_e32 v68, v73, v179
	v_fma_f32 v73, v84, v177, -v2
	v_fmac_f32_e32 v74, v86, v25
	v_mul_f32_e32 v2, v87, v25
	v_fmac_f32_e32 v14, 0xbf737871, v3
	v_sub_f32_e32 v13, v50, v27
	v_sub_f32_e32 v15, v43, v49
	;; [unrolled: 1-line block ×3, first 2 shown]
	v_fmac_f32_e32 v12, 0x3f737871, v3
	v_fma_f32 v75, v86, v26, -v2
	v_mul_f32_e32 v2, v81, v180
	v_fmac_f32_e32 v14, 0xbf167918, v13
	v_add_f32_e32 v15, v15, v25
	v_fmac_f32_e32 v12, 0x3f167918, v13
	v_fmac_f32_e32 v57, v64, v39
	v_mul_f32_e32 v64, v77, v175
	v_fma_f32 v77, v80, v181, -v2
	s_waitcnt lgkmcnt(0)
	v_mul_f32_e32 v2, v83, v41
	v_fmac_f32_e32 v14, 0x3e9e377a, v15
	v_fmac_f32_e32 v12, 0x3e9e377a, v15
	v_add_f32_e32 v15, v43, v28
	v_fmac_f32_e32 v40, v66, v170
	v_mul_f32_e32 v66, v79, v169
	v_fma_f32 v79, v82, v42, -v2
	v_add_f32_e32 v2, v4, v43
	v_fma_f32 v4, -0.5, v15, v4
	v_mov_b32_e32 v25, v4
	v_add_f32_e32 v2, v2, v49
	v_fmac_f32_e32 v25, 0x3f737871, v13
	v_sub_f32_e32 v15, v49, v43
	v_sub_f32_e32 v26, v51, v28
	v_fmac_f32_e32 v4, 0xbf737871, v13
	v_add_f32_e32 v13, v50, v27
	v_add_f32_e32 v2, v2, v51
	v_fmac_f32_e32 v25, 0xbf167918, v3
	v_add_f32_e32 v15, v15, v26
	v_fmac_f32_e32 v4, 0x3f167918, v3
	v_fma_f32 v13, -0.5, v13, v5
	v_add_f32_e32 v2, v2, v28
	v_fmac_f32_e32 v25, 0x3e9e377a, v15
	v_fmac_f32_e32 v4, 0x3e9e377a, v15
	v_sub_f32_e32 v28, v43, v28
	v_mov_b32_e32 v15, v13
	v_fmac_f32_e32 v15, 0x3f737871, v28
	v_sub_f32_e32 v30, v49, v51
	v_sub_f32_e32 v26, v48, v50
	;; [unrolled: 1-line block ×3, first 2 shown]
	v_fmac_f32_e32 v13, 0xbf737871, v28
	v_fmac_f32_e32 v15, 0x3f167918, v30
	v_add_f32_e32 v26, v26, v31
	v_fmac_f32_e32 v13, 0xbf167918, v30
	v_fmac_f32_e32 v15, 0x3e9e377a, v26
	;; [unrolled: 1-line block ×3, first 2 shown]
	v_add_f32_e32 v26, v48, v29
	v_add_f32_e32 v3, v5, v48
	v_fma_f32 v5, -0.5, v26, v5
	v_mov_b32_e32 v26, v5
	v_add_f32_e32 v3, v3, v50
	v_fmac_f32_e32 v26, 0xbf737871, v30
	v_fmac_f32_e32 v5, 0x3f737871, v30
	v_add_f32_e32 v3, v3, v27
	v_fmac_f32_e32 v26, 0x3f167918, v28
	v_fmac_f32_e32 v5, 0xbf167918, v28
	v_add_f32_e32 v28, v34, v47
	v_add_f32_e32 v3, v3, v29
	v_sub_f32_e32 v31, v50, v48
	v_sub_f32_e32 v27, v27, v29
	v_fma_f32 v29, -0.5, v28, v6
	v_add_f32_e32 v27, v31, v27
	v_sub_f32_e32 v28, v45, v52
	v_mov_b32_e32 v31, v29
	v_fmac_f32_e32 v31, 0xbf737871, v28
	v_sub_f32_e32 v30, v46, v37
	v_sub_f32_e32 v32, v44, v34
	;; [unrolled: 1-line block ×3, first 2 shown]
	v_fmac_f32_e32 v29, 0x3f737871, v28
	v_fmac_f32_e32 v31, 0xbf167918, v30
	v_add_f32_e32 v32, v32, v33
	v_fmac_f32_e32 v29, 0x3f167918, v30
	v_fmac_f32_e32 v31, 0x3e9e377a, v32
	;; [unrolled: 1-line block ×3, first 2 shown]
	v_add_f32_e32 v32, v44, v38
	v_fmac_f32_e32 v26, 0x3e9e377a, v27
	v_fmac_f32_e32 v5, 0x3e9e377a, v27
	v_add_f32_e32 v27, v6, v44
	v_fma_f32 v6, -0.5, v32, v6
	v_mov_b32_e32 v33, v6
	v_fmac_f32_e32 v33, 0x3f737871, v30
	v_sub_f32_e32 v32, v34, v44
	v_sub_f32_e32 v35, v47, v38
	v_fmac_f32_e32 v6, 0xbf737871, v30
	v_add_f32_e32 v30, v46, v37
	v_add_f32_e32 v27, v27, v34
	v_fmac_f32_e32 v33, 0xbf167918, v28
	v_add_f32_e32 v32, v32, v35
	v_fmac_f32_e32 v6, 0x3f167918, v28
	v_fma_f32 v30, -0.5, v30, v7
	v_add_f32_e32 v27, v27, v47
	v_fmac_f32_e32 v33, 0x3e9e377a, v32
	v_fmac_f32_e32 v6, 0x3e9e377a, v32
	v_sub_f32_e32 v35, v44, v38
	v_mov_b32_e32 v32, v30
	v_add_f32_e32 v27, v27, v38
	v_fmac_f32_e32 v32, 0x3f737871, v35
	v_sub_f32_e32 v36, v34, v47
	v_sub_f32_e32 v34, v45, v46
	;; [unrolled: 1-line block ×3, first 2 shown]
	v_fmac_f32_e32 v30, 0xbf737871, v35
	v_fmac_f32_e32 v32, 0x3f167918, v36
	v_add_f32_e32 v34, v34, v38
	v_fmac_f32_e32 v30, 0xbf167918, v36
	v_fmac_f32_e32 v32, 0x3e9e377a, v34
	;; [unrolled: 1-line block ×3, first 2 shown]
	v_add_f32_e32 v34, v45, v52
	v_add_f32_e32 v28, v7, v45
	v_fmac_f32_e32 v7, -0.5, v34
	v_add_f32_e32 v28, v28, v46
	v_mov_b32_e32 v34, v7
	v_add_f32_e32 v28, v28, v37
	v_fmac_f32_e32 v34, 0xbf737871, v36
	v_sub_f32_e32 v38, v46, v45
	v_sub_f32_e32 v37, v37, v52
	v_fmac_f32_e32 v7, 0x3f737871, v36
	v_fmac_f32_e32 v34, 0x3f167918, v35
	v_add_f32_e32 v37, v38, v37
	v_fmac_f32_e32 v7, 0xbf167918, v35
	v_add_f32_e32 v36, v55, v57
	v_fmac_f32_e32 v34, 0x3e9e377a, v37
	v_fmac_f32_e32 v7, 0x3e9e377a, v37
	v_fma_f32 v37, -0.5, v36, v8
	v_fmac_f32_e32 v66, v78, v168
	v_mul_f32_e32 v78, v83, v42
	v_sub_f32_e32 v36, v54, v59
	v_mov_b32_e32 v39, v37
	v_fmac_f32_e32 v78, v82, v41
	v_fmac_f32_e32 v39, 0xbf737871, v36
	v_sub_f32_e32 v38, v56, v58
	v_sub_f32_e32 v41, v53, v55
	;; [unrolled: 1-line block ×3, first 2 shown]
	v_fmac_f32_e32 v37, 0x3f737871, v36
	v_fmac_f32_e32 v39, 0xbf167918, v38
	v_add_f32_e32 v41, v41, v42
	v_fmac_f32_e32 v37, 0x3f167918, v38
	v_fmac_f32_e32 v39, 0x3e9e377a, v41
	;; [unrolled: 1-line block ×3, first 2 shown]
	v_add_f32_e32 v41, v53, v40
	v_add_f32_e32 v35, v8, v53
	v_fma_f32 v8, -0.5, v41, v8
	v_mov_b32_e32 v41, v8
	v_add_f32_e32 v35, v35, v55
	v_fmac_f32_e32 v41, 0x3f737871, v38
	v_fmac_f32_e32 v8, 0xbf737871, v38
	v_add_f32_e32 v38, v56, v58
	v_add_f32_e32 v35, v35, v57
	v_sub_f32_e32 v42, v55, v53
	v_sub_f32_e32 v43, v57, v40
	v_fma_f32 v38, -0.5, v38, v9
	v_add_f32_e32 v35, v35, v40
	v_fmac_f32_e32 v41, 0xbf167918, v36
	v_add_f32_e32 v42, v42, v43
	v_fmac_f32_e32 v8, 0x3f167918, v36
	v_sub_f32_e32 v43, v53, v40
	v_mov_b32_e32 v40, v38
	v_fmac_f32_e32 v41, 0x3e9e377a, v42
	v_fmac_f32_e32 v8, 0x3e9e377a, v42
	;; [unrolled: 1-line block ×3, first 2 shown]
	v_sub_f32_e32 v44, v55, v57
	v_sub_f32_e32 v42, v54, v56
	;; [unrolled: 1-line block ×3, first 2 shown]
	v_fmac_f32_e32 v38, 0xbf737871, v43
	v_fmac_f32_e32 v40, 0x3f167918, v44
	v_add_f32_e32 v42, v42, v45
	v_fmac_f32_e32 v38, 0xbf167918, v44
	v_fmac_f32_e32 v40, 0x3e9e377a, v42
	;; [unrolled: 1-line block ×3, first 2 shown]
	v_add_f32_e32 v42, v54, v59
	v_add_f32_e32 v36, v9, v54
	v_fma_f32 v9, -0.5, v42, v9
	v_mov_b32_e32 v42, v9
	v_fmac_f32_e32 v68, v72, v178
	v_fmac_f32_e32 v42, 0xbf737871, v44
	v_sub_f32_e32 v45, v56, v54
	v_sub_f32_e32 v46, v58, v59
	v_fmac_f32_e32 v9, 0x3f737871, v44
	v_fmac_f32_e32 v42, 0x3f167918, v43
	v_add_f32_e32 v45, v45, v46
	v_fmac_f32_e32 v9, 0xbf167918, v43
	v_add_f32_e32 v44, v66, v68
	v_fmac_f32_e32 v42, 0x3e9e377a, v45
	v_fmac_f32_e32 v9, 0x3e9e377a, v45
	v_fma_f32 v45, -0.5, v44, v10
	v_fmac_f32_e32 v64, v76, v174
	v_sub_f32_e32 v44, v65, v71
	v_mov_b32_e32 v50, v45
	v_fmac_f32_e32 v50, 0xbf737871, v44
	v_sub_f32_e32 v46, v67, v69
	v_sub_f32_e32 v47, v64, v66
	;; [unrolled: 1-line block ×3, first 2 shown]
	v_fmac_f32_e32 v45, 0x3f737871, v44
	v_fmac_f32_e32 v50, 0xbf167918, v46
	v_add_f32_e32 v47, v47, v48
	v_fmac_f32_e32 v45, 0x3f167918, v46
	v_fmac_f32_e32 v50, 0x3e9e377a, v47
	;; [unrolled: 1-line block ×3, first 2 shown]
	v_add_f32_e32 v47, v64, v70
	v_add_f32_e32 v43, v10, v64
	v_fma_f32 v10, -0.5, v47, v10
	v_add_f32_e32 v28, v28, v52
	v_mov_b32_e32 v52, v10
	v_fmac_f32_e32 v52, 0x3f737871, v46
	v_sub_f32_e32 v47, v66, v64
	v_sub_f32_e32 v48, v68, v70
	v_fmac_f32_e32 v10, 0xbf737871, v46
	v_add_f32_e32 v46, v67, v69
	v_fmac_f32_e32 v52, 0xbf167918, v44
	v_add_f32_e32 v47, v47, v48
	v_fmac_f32_e32 v10, 0x3f167918, v44
	v_fma_f32 v46, -0.5, v46, v11
	v_fmac_f32_e32 v52, 0x3e9e377a, v47
	v_fmac_f32_e32 v10, 0x3e9e377a, v47
	v_sub_f32_e32 v47, v64, v70
	v_mov_b32_e32 v51, v46
	v_fmac_f32_e32 v51, 0x3f737871, v47
	v_sub_f32_e32 v48, v66, v68
	v_sub_f32_e32 v49, v65, v67
	;; [unrolled: 1-line block ×3, first 2 shown]
	v_fmac_f32_e32 v46, 0xbf737871, v47
	v_fmac_f32_e32 v51, 0x3f167918, v48
	v_add_f32_e32 v49, v49, v53
	v_fmac_f32_e32 v46, 0xbf167918, v48
	v_fmac_f32_e32 v51, 0x3e9e377a, v49
	;; [unrolled: 1-line block ×3, first 2 shown]
	v_add_f32_e32 v49, v65, v71
	v_add_f32_e32 v44, v11, v65
	v_fmac_f32_e32 v11, -0.5, v49
	v_mul_f32_e32 v72, v85, v177
	v_mov_b32_e32 v53, v11
	v_fmac_f32_e32 v72, v84, v176
	v_fmac_f32_e32 v53, 0xbf737871, v48
	;; [unrolled: 1-line block ×3, first 2 shown]
	v_mul_f32_e32 v76, v81, v181
	v_fmac_f32_e32 v53, 0x3f167918, v47
	v_fmac_f32_e32 v11, 0xbf167918, v47
	v_add_f32_e32 v47, v0, v72
	v_fmac_f32_e32 v76, v80, v180
	v_add_f32_e32 v47, v47, v74
	v_sub_f32_e32 v49, v67, v65
	v_sub_f32_e32 v54, v69, v71
	v_add_f32_e32 v47, v47, v76
	v_add_f32_e32 v49, v49, v54
	;; [unrolled: 1-line block ×4, first 2 shown]
	v_fma_f32 v48, -0.5, v47, v0
	v_add_f32_e32 v36, v36, v56
	v_sub_f32_e32 v47, v73, v79
	v_mov_b32_e32 v56, v48
	v_fmac_f32_e32 v53, 0x3e9e377a, v49
	v_fmac_f32_e32 v11, 0x3e9e377a, v49
	;; [unrolled: 1-line block ×3, first 2 shown]
	v_sub_f32_e32 v49, v75, v77
	v_sub_f32_e32 v55, v72, v74
	;; [unrolled: 1-line block ×3, first 2 shown]
	v_fmac_f32_e32 v48, 0x3f737871, v47
	v_fmac_f32_e32 v56, 0xbf167918, v49
	v_add_f32_e32 v55, v55, v57
	v_fmac_f32_e32 v48, 0x3f167918, v49
	v_fmac_f32_e32 v56, 0x3e9e377a, v55
	;; [unrolled: 1-line block ×3, first 2 shown]
	v_add_f32_e32 v55, v72, v78
	v_fma_f32 v0, -0.5, v55, v0
	v_add_f32_e32 v36, v36, v58
	v_mov_b32_e32 v58, v0
	v_fmac_f32_e32 v58, 0x3f737871, v49
	v_fmac_f32_e32 v0, 0xbf737871, v49
	;; [unrolled: 1-line block ×4, first 2 shown]
	v_add_f32_e32 v47, v1, v73
	v_sub_f32_e32 v55, v74, v72
	v_sub_f32_e32 v57, v76, v78
	v_add_f32_e32 v47, v47, v75
	v_add_f32_e32 v55, v55, v57
	;; [unrolled: 1-line block ×3, first 2 shown]
	v_fmac_f32_e32 v58, 0x3e9e377a, v55
	v_fmac_f32_e32 v0, 0x3e9e377a, v55
	v_add_f32_e32 v55, v47, v79
	v_add_f32_e32 v47, v75, v77
	v_fma_f32 v49, -0.5, v47, v1
	v_sub_f32_e32 v47, v72, v78
	v_mov_b32_e32 v57, v49
	v_add_f32_e32 v36, v36, v59
	v_fmac_f32_e32 v57, 0x3f737871, v47
	v_sub_f32_e32 v64, v74, v76
	v_sub_f32_e32 v59, v73, v75
	;; [unrolled: 1-line block ×3, first 2 shown]
	v_fmac_f32_e32 v49, 0xbf737871, v47
	v_fmac_f32_e32 v57, 0x3f167918, v64
	v_add_f32_e32 v59, v59, v65
	v_fmac_f32_e32 v49, 0xbf167918, v64
	v_fmac_f32_e32 v57, 0x3e9e377a, v59
	;; [unrolled: 1-line block ×3, first 2 shown]
	v_add_f32_e32 v59, v73, v79
	v_fmac_f32_e32 v1, -0.5, v59
	v_mov_b32_e32 v59, v1
	v_fmac_f32_e32 v59, 0xbf737871, v64
	v_fmac_f32_e32 v1, 0x3f737871, v64
	;; [unrolled: 1-line block ×4, first 2 shown]
	s_barrier
	buffer_load_dword v47, off, s[20:23], 0 offset:160 ; 4-byte Folded Reload
	s_waitcnt vmcnt(0)
	ds_write2_b64 v47, v[2:3], v[14:15] offset1:30
	ds_write2_b64 v47, v[25:26], v[4:5] offset0:60 offset1:90
	ds_write_b64 v47, v[12:13] offset:960
	buffer_load_dword v2, off, s[20:23], 0 offset:164 ; 4-byte Folded Reload
	s_waitcnt vmcnt(0)
	ds_write2_b64 v2, v[27:28], v[31:32] offset1:30
	ds_write2_b64 v2, v[33:34], v[6:7] offset0:60 offset1:90
	ds_write_b64 v2, v[29:30] offset:960
	;; [unrolled: 5-line block ×3, first 2 shown]
	buffer_load_dword v2, off, s[20:23], 0 offset:172 ; 4-byte Folded Reload
	v_add_f32_e32 v43, v43, v66
	v_add_f32_e32 v44, v44, v67
	;; [unrolled: 1-line block ×6, first 2 shown]
	s_waitcnt vmcnt(0)
	ds_write2_b64 v2, v[43:44], v[50:51] offset1:30
	ds_write2_b64 v2, v[52:53], v[10:11] offset0:60 offset1:90
	ds_write_b64 v2, v[45:46] offset:960
	buffer_load_dword v2, off, s[20:23], 0 offset:176 ; 4-byte Folded Reload
	v_sub_f32_e32 v65, v75, v73
	v_sub_f32_e32 v66, v77, v79
	v_add_f32_e32 v65, v65, v66
	v_fmac_f32_e32 v59, 0x3e9e377a, v65
	v_fmac_f32_e32 v1, 0x3e9e377a, v65
	s_waitcnt vmcnt(0)
	ds_write2_b64 v2, v[54:55], v[56:57] offset1:30
	ds_write2_b64 v2, v[58:59], v[0:1] offset0:60 offset1:90
	ds_write_b64 v2, v[48:49] offset:960
	v_add_u32_e32 v0, 0x2c00, v216
	s_waitcnt lgkmcnt(0)
	s_barrier
	ds_read2_b64 v[12:15], v216 offset1:90
	ds_read2_b64 v[44:47], v24 offset0:110 offset1:200
	ds_read2_b64 v[40:43], v0 offset0:92 offset1:182
	;; [unrolled: 1-line block ×11, first 2 shown]
	s_and_saveexec_b64 s[4:5], s[2:3]
	s_cbranch_execz .LBB0_27
; %bb.26:
	ds_read_b64 v[48:49], v216 offset:5760
	ds_read_b64 v[164:165], v216 offset:11760
	;; [unrolled: 1-line block ×3, first 2 shown]
.LBB0_27:
	s_or_b64 exec, exec, s[4:5]
	s_waitcnt lgkmcnt(10)
	v_mul_f32_e32 v50, v93, v45
	v_fmac_f32_e32 v50, v92, v44
	v_mul_f32_e32 v44, v93, v44
	s_waitcnt lgkmcnt(0)
	v_mul_f32_e32 v64, v115, v17
	v_fma_f32 v44, v92, v45, -v44
	v_mul_f32_e32 v45, v95, v41
	v_fmac_f32_e32 v64, v114, v16
	v_mul_f32_e32 v16, v115, v16
	v_fmac_f32_e32 v45, v94, v40
	v_fma_f32 v65, v114, v17, -v16
	v_mul_f32_e32 v16, v117, v22
	v_mul_f32_e32 v40, v95, v40
	v_fma_f32 v67, v116, v23, -v16
	v_mul_f32_e32 v16, v119, v18
	v_add_f32_e32 v17, v50, v45
	v_fma_f32 v40, v94, v41, -v40
	v_mul_f32_e32 v68, v119, v19
	v_fma_f32 v69, v118, v19, -v16
	v_add_f32_e32 v16, v12, v50
	v_fma_f32 v12, -0.5, v17, v12
	v_mul_f32_e32 v58, v113, v21
	v_fmac_f32_e32 v68, v118, v18
	v_sub_f32_e32 v17, v44, v40
	v_mov_b32_e32 v18, v12
	v_add_f32_e32 v19, v44, v40
	v_fmac_f32_e32 v58, v112, v20
	v_mul_f32_e32 v20, v113, v20
	v_fmac_f32_e32 v18, 0xbf5db3d7, v17
	v_fmac_f32_e32 v12, 0x3f5db3d7, v17
	v_add_f32_e32 v17, v13, v44
	v_fma_f32 v13, -0.5, v19, v13
	v_fma_f32 v59, v112, v21, -v20
	v_sub_f32_e32 v20, v50, v45
	v_mov_b32_e32 v19, v13
	v_add_f32_e32 v16, v16, v45
	v_add_f32_e32 v17, v17, v40
	v_fmac_f32_e32 v19, 0x3f5db3d7, v20
	v_fmac_f32_e32 v13, 0xbf5db3d7, v20
	s_barrier
	ds_write2_b64 v216, v[16:17], v[18:19] offset1:150
	ds_write_b64 v216, v[12:13] offset:2400
	buffer_load_dword v12, off, s[20:23], 0 offset:184 ; 4-byte Folded Reload
	v_mul_f32_e32 v41, v101, v47
	v_fmac_f32_e32 v41, v100, v46
	v_mul_f32_e32 v46, v101, v46
	v_fma_f32 v46, v100, v47, -v46
	v_mul_f32_e32 v47, v103, v43
	v_fmac_f32_e32 v47, v102, v42
	v_mul_f32_e32 v42, v103, v42
	v_fma_f32 v42, v102, v43, -v42
	;; [unrolled: 4-line block ×3, first 2 shown]
	v_mul_f32_e32 v37, v91, v33
	v_mul_f32_e32 v52, v111, v25
	v_add_f32_e32 v21, v41, v47
	v_fmac_f32_e32 v37, v90, v32
	v_mul_f32_e32 v32, v91, v32
	v_fmac_f32_e32 v52, v110, v24
	v_mul_f32_e32 v24, v111, v24
	v_mul_f32_e32 v66, v117, v23
	v_add_f32_e32 v20, v14, v41
	v_fma_f32 v14, -0.5, v21, v14
	v_fma_f32 v32, v90, v33, -v32
	v_mul_f32_e32 v33, v97, v39
	v_fma_f32 v53, v110, v25, -v24
	v_mul_f32_e32 v24, v105, v30
	v_fmac_f32_e32 v66, v116, v22
	v_sub_f32_e32 v21, v46, v42
	v_mov_b32_e32 v22, v14
	v_add_f32_e32 v23, v46, v42
	v_fmac_f32_e32 v33, v96, v38
	v_mul_f32_e32 v38, v97, v38
	v_fma_f32 v55, v104, v31, -v24
	v_mul_f32_e32 v24, v107, v26
	v_fmac_f32_e32 v22, 0xbf5db3d7, v21
	v_fmac_f32_e32 v14, 0x3f5db3d7, v21
	v_add_f32_e32 v21, v15, v46
	v_fmac_f32_e32 v15, -0.5, v23
	v_fma_f32 v38, v96, v39, -v38
	v_mul_f32_e32 v39, v99, v35
	v_fma_f32 v57, v106, v27, -v24
	v_sub_f32_e32 v24, v41, v47
	v_mov_b32_e32 v23, v15
	v_add_f32_e32 v25, v43, v37
	v_fmac_f32_e32 v39, v98, v34
	v_mul_f32_e32 v34, v99, v34
	v_mul_f32_e32 v56, v107, v27
	v_fmac_f32_e32 v23, 0x3f5db3d7, v24
	v_fmac_f32_e32 v15, 0xbf5db3d7, v24
	v_add_f32_e32 v24, v8, v43
	v_fma_f32 v8, -0.5, v25, v8
	v_fma_f32 v34, v98, v35, -v34
	v_mul_f32_e32 v35, v109, v29
	v_fmac_f32_e32 v56, v106, v26
	v_sub_f32_e32 v25, v36, v32
	v_mov_b32_e32 v26, v8
	v_add_f32_e32 v27, v36, v32
	v_fmac_f32_e32 v35, v108, v28
	v_mul_f32_e32 v28, v109, v28
	v_fmac_f32_e32 v26, 0xbf5db3d7, v25
	v_fmac_f32_e32 v8, 0x3f5db3d7, v25
	v_add_f32_e32 v25, v9, v36
	v_fma_f32 v9, -0.5, v27, v9
	v_fma_f32 v51, v108, v29, -v28
	v_sub_f32_e32 v28, v43, v37
	v_mov_b32_e32 v27, v9
	v_add_f32_e32 v20, v20, v47
	v_add_f32_e32 v21, v21, v42
	;; [unrolled: 1-line block ×4, first 2 shown]
	v_fmac_f32_e32 v27, 0x3f5db3d7, v28
	v_add_u32_e32 v16, 0xc00, v216
	v_fmac_f32_e32 v9, 0xbf5db3d7, v28
	s_waitcnt vmcnt(0)
	ds_write2_b64 v12, v[20:21], v[22:23] offset1:150
	ds_write_b64 v12, v[14:15] offset:2400
	ds_write2_b64 v16, v[24:25], v[26:27] offset0:96 offset1:246
	ds_write_b64 v216, v[8:9] offset:6240
	buffer_load_dword v8, off, s[20:23], 0 offset:188 ; 4-byte Folded Reload
	v_add_f32_e32 v29, v33, v39
	v_mul_f32_e32 v54, v105, v31
	v_add_f32_e32 v28, v10, v33
	v_fma_f32 v10, -0.5, v29, v10
	v_fmac_f32_e32 v54, v104, v30
	v_sub_f32_e32 v29, v38, v34
	v_mov_b32_e32 v30, v10
	v_add_f32_e32 v31, v38, v34
	v_fmac_f32_e32 v30, 0xbf5db3d7, v29
	v_fmac_f32_e32 v10, 0x3f5db3d7, v29
	v_add_f32_e32 v29, v11, v38
	v_fmac_f32_e32 v11, -0.5, v31
	v_sub_f32_e32 v32, v33, v39
	v_mov_b32_e32 v31, v11
	v_add_f32_e32 v28, v28, v39
	v_add_f32_e32 v29, v29, v34
	v_fmac_f32_e32 v31, 0x3f5db3d7, v32
	v_fmac_f32_e32 v11, 0xbf5db3d7, v32
	v_add_f32_e32 v33, v35, v52
	v_add_f32_e32 v32, v4, v35
	v_fma_f32 v4, -0.5, v33, v4
	v_sub_f32_e32 v33, v51, v53
	v_mov_b32_e32 v34, v4
	v_add_f32_e32 v36, v51, v53
	v_fmac_f32_e32 v34, 0xbf5db3d7, v33
	v_fmac_f32_e32 v4, 0x3f5db3d7, v33
	v_add_f32_e32 v33, v5, v51
	v_fma_f32 v5, -0.5, v36, v5
	v_sub_f32_e32 v36, v35, v52
	v_mov_b32_e32 v35, v5
	v_add_f32_e32 v32, v32, v52
	v_add_f32_e32 v33, v33, v53
	v_fmac_f32_e32 v35, 0x3f5db3d7, v36
	v_fmac_f32_e32 v5, 0xbf5db3d7, v36
	v_add_f32_e32 v37, v54, v56
	v_add_f32_e32 v36, v6, v54
	v_fma_f32 v6, -0.5, v37, v6
	v_sub_f32_e32 v37, v55, v57
	v_mov_b32_e32 v38, v6
	v_add_f32_e32 v39, v55, v57
	v_fmac_f32_e32 v38, 0xbf5db3d7, v37
	v_fmac_f32_e32 v6, 0x3f5db3d7, v37
	v_add_f32_e32 v37, v7, v55
	v_fmac_f32_e32 v7, -0.5, v39
	v_sub_f32_e32 v40, v54, v56
	v_mov_b32_e32 v39, v7
	v_add_f32_e32 v36, v36, v56
	s_waitcnt vmcnt(0)
	ds_write2_b64 v8, v[28:29], v[30:31] offset1:150
	ds_write_b64 v8, v[10:11] offset:2400
	buffer_load_dword v9, off, s[20:23], 0 offset:192 ; 4-byte Folded Reload
	v_add_f32_e32 v37, v37, v57
	v_fmac_f32_e32 v39, 0x3f5db3d7, v40
	v_fmac_f32_e32 v7, 0xbf5db3d7, v40
	v_add_f32_e32 v41, v58, v64
	v_add_f32_e32 v40, v0, v58
	v_fma_f32 v0, -0.5, v41, v0
	v_sub_f32_e32 v41, v59, v65
	v_mov_b32_e32 v42, v0
	v_add_f32_e32 v43, v59, v65
	v_fmac_f32_e32 v42, 0xbf5db3d7, v41
	v_fmac_f32_e32 v0, 0x3f5db3d7, v41
	v_add_f32_e32 v41, v1, v59
	v_fma_f32 v1, -0.5, v43, v1
	v_sub_f32_e32 v44, v58, v64
	v_mov_b32_e32 v43, v1
	v_add_f32_e32 v40, v40, v64
	v_add_f32_e32 v41, v41, v65
	v_fmac_f32_e32 v43, 0x3f5db3d7, v44
	v_fmac_f32_e32 v1, 0xbf5db3d7, v44
	v_add_f32_e32 v45, v66, v68
	v_add_f32_e32 v44, v2, v66
	v_fma_f32 v2, -0.5, v45, v2
	v_sub_f32_e32 v45, v67, v69
	v_mov_b32_e32 v46, v2
	v_add_f32_e32 v47, v67, v69
	v_fmac_f32_e32 v46, 0xbf5db3d7, v45
	v_fmac_f32_e32 v2, 0x3f5db3d7, v45
	v_add_f32_e32 v45, v3, v67
	v_fmac_f32_e32 v3, -0.5, v47
	v_sub_f32_e32 v50, v66, v68
	v_mov_b32_e32 v47, v3
	v_add_f32_e32 v44, v44, v68
	v_add_f32_e32 v45, v45, v69
	v_fmac_f32_e32 v47, 0x3f5db3d7, v50
	v_fmac_f32_e32 v3, 0xbf5db3d7, v50
	s_waitcnt vmcnt(0)
	v_add_u32_e32 v8, 0x1c00, v9
	ds_write2_b64 v8, v[32:33], v[34:35] offset0:4 offset1:154
	ds_write_b64 v9, v[4:5] offset:9600
	buffer_load_dword v5, off, s[20:23], 0 offset:196 ; 4-byte Folded Reload
	s_waitcnt vmcnt(0)
	v_add_u32_e32 v4, 0x2800, v5
	ds_write2_b64 v4, v[36:37], v[38:39] offset0:70 offset1:220
	ds_write_b64 v5, v[6:7] offset:13200
	buffer_load_dword v4, off, s[20:23], 0 offset:200 ; 4-byte Folded Reload
	s_waitcnt vmcnt(0)
	ds_write2_b64 v4, v[40:41], v[42:43] offset1:150
	ds_write_b64 v4, v[0:1] offset:2400
	buffer_load_dword v1, off, s[20:23], 0 offset:204 ; 4-byte Folded Reload
	s_waitcnt vmcnt(0)
	v_add_u32_e32 v0, 0x3800, v1
	ds_write2_b64 v0, v[44:45], v[46:47] offset0:8 offset1:158
	ds_write_b64 v1, v[2:3] offset:16800
	s_and_saveexec_b64 s[4:5], s[2:3]
	s_cbranch_execz .LBB0_29
; %bb.28:
	v_mul_f32_e32 v0, v61, v164
	v_fma_f32 v2, v60, v165, -v0
	v_mul_f32_e32 v0, v63, v160
	v_fma_f32 v4, v62, v161, -v0
	v_add_f32_e32 v0, v2, v4
	v_mul_f32_e32 v6, v61, v165
	v_mul_f32_e32 v7, v63, v161
	v_fma_f32 v1, -0.5, v0, v49
	v_fmac_f32_e32 v6, v60, v164
	v_fmac_f32_e32 v7, v62, v160
	v_sub_f32_e32 v0, v6, v7
	v_mov_b32_e32 v3, v1
	v_fmac_f32_e32 v3, 0xbf5db3d7, v0
	v_fmac_f32_e32 v1, 0x3f5db3d7, v0
	v_add_f32_e32 v0, v49, v2
	v_add_f32_e32 v5, v0, v4
	;; [unrolled: 1-line block ×3, first 2 shown]
	v_fma_f32 v0, -0.5, v0, v48
	v_sub_f32_e32 v4, v2, v4
	v_mov_b32_e32 v2, v0
	v_fmac_f32_e32 v2, 0x3f5db3d7, v4
	v_fmac_f32_e32 v0, 0xbf5db3d7, v4
	v_add_f32_e32 v4, v48, v6
	v_add_f32_e32 v4, v4, v7
	buffer_load_dword v7, off, s[20:23], 0 offset:180 ; 4-byte Folded Reload
	s_waitcnt vmcnt(0)
	v_add_u32_e32 v6, 0x3800, v7
	ds_write2_b64 v6, v[4:5], v[0:1] offset0:8 offset1:158
	ds_write_b64 v7, v[2:3] offset:16800
.LBB0_29:
	s_or_b64 exec, exec, s[4:5]
	buffer_load_dword v0, off, s[20:23], 0 offset:112 ; 4-byte Folded Reload
	buffer_load_dword v1, off, s[20:23], 0 offset:116 ; 4-byte Folded Reload
	s_waitcnt vmcnt(0) lgkmcnt(0)
	s_barrier
	v_add_u32_e32 v20, 0x1800, v216
	ds_read2_b64 v[24:27], v20 offset0:132 offset1:222
	v_add_u32_e32 v8, 0x2400, v216
	ds_read2_b64 v[28:31], v8 offset0:108 offset1:198
	;; [unrolled: 2-line block ×5, first 2 shown]
	s_waitcnt lgkmcnt(3)
	v_mul_f32_e32 v66, v121, v31
	v_add_u32_e32 v19, 0x2000, v216
	v_fmac_f32_e32 v66, v120, v30
	ds_read2_b64 v[44:47], v19 offset0:56 offset1:146
	v_add_u32_e32 v23, 0x1400, v216
	s_waitcnt lgkmcnt(1)
	v_mul_f32_e32 v70, v129, v41
	ds_read2_b64 v[52:55], v23 offset0:80 offset1:170
	v_fmac_f32_e32 v70, v128, v40
	v_add_u32_e32 v22, 0x400, v216
	v_add_u32_e32 v17, 0x3000, v216
	ds_read2_b64 v[4:7], v216 offset1:90
	ds_read2_b64 v[8:11], v22 offset0:52 offset1:142
	s_waitcnt lgkmcnt(3)
	v_mul_f32_e32 v74, v143, v45
	v_mul_f32_e32 v64, v127, v25
	v_fmac_f32_e32 v64, v126, v24
	v_mul_f32_e32 v67, v133, v37
	v_mul_f32_e32 v84, v159, v29
	v_fmac_f32_e32 v84, v158, v28
	v_fmac_f32_e32 v67, v132, v36
	v_mul_f32_e32 v72, v141, v39
	v_fmac_f32_e32 v72, v140, v38
	v_fmac_f32_e32 v74, v142, v44
	s_waitcnt lgkmcnt(2)
	v_mul_f32_e32 v77, v149, v53
	v_fmac_f32_e32 v77, v148, v52
	v_mul_f32_e32 v82, v157, v55
	v_fmac_f32_e32 v82, v156, v54
	s_mul_hi_u32 s7, s12, 0xfffff871
	s_mul_i32 s6, s13, 0xfffff871
	s_sub_i32 s7, s7, s12
	s_add_i32 s7, s7, s6
	s_mul_i32 s6, s12, 0xfffff871
	s_lshl_b64 s[6:7], s[6:7], 3
	s_movk_i32 s10, 0x1000
	s_movk_i32 s9, 0x2000
	s_movk_i32 s8, 0x3000
	v_mov_b32_e32 v1, v0
	v_mad_u64_u32 v[12:13], s[2:3], s14, v1, 0
	v_mov_b32_e32 v0, v13
	v_mad_u64_u32 v[13:14], s[2:3], s15, v1, v[0:1]
	v_add_u32_e32 v0, 0x800, v216
	ds_read2_b64 v[0:3], v0 offset0:104 offset1:194
	v_add_u32_e32 v14, 0x3c00, v216
	ds_read2_b64 v[48:51], v14 offset0:60 offset1:150
	ds_read2_b64 v[56:59], v17 offset0:84 offset1:174
	ds_read_b64 v[60:61], v216 offset:17280
	s_mov_b32 s2, 0x5a912e32
	s_waitcnt lgkmcnt(3)
	v_mul_f32_e32 v62, v125, v3
	v_fmac_f32_e32 v62, v124, v2
	v_mul_f32_e32 v2, v125, v2
	v_fma_f32 v63, v124, v3, -v2
	v_mul_f32_e32 v2, v127, v24
	v_fma_f32 v65, v126, v25, -v2
	;; [unrolled: 2-line block ×3, first 2 shown]
	v_mul_f32_e32 v31, v123, v33
	v_mul_f32_e32 v2, v123, v32
	v_fmac_f32_e32 v31, v122, v32
	v_fma_f32 v32, v122, v33, -v2
	v_mul_f32_e32 v2, v133, v36
	v_fma_f32 v68, v132, v37, -v2
	v_mul_f32_e32 v2, v135, v26
	;; [unrolled: 2-line block ×7, first 2 shown]
	v_mul_f32_e32 v45, v137, v43
	v_fma_f32 v76, v136, v43, -v2
	s_waitcnt lgkmcnt(2)
	v_mul_f32_e32 v43, v139, v49
	v_mul_f32_e32 v2, v139, v48
	v_fmac_f32_e32 v43, v138, v48
	v_fma_f32 v48, v138, v49, -v2
	v_mul_f32_e32 v2, v149, v52
	v_fma_f32 v78, v148, v53, -v2
	v_mul_f32_e32 v2, v151, v46
	v_fma_f32 v79, v150, v47, -v2
	s_waitcnt lgkmcnt(1)
	v_mul_f32_e32 v80, v145, v57
	v_mul_f32_e32 v2, v145, v56
	v_add_f32_e32 v3, v64, v66
	v_mul_f32_e32 v37, v135, v27
	v_fmac_f32_e32 v80, v144, v56
	v_fma_f32 v56, v144, v57, -v2
	v_mul_f32_e32 v2, v147, v50
	v_fma_f32 v24, -0.5, v3, v4
	v_fmac_f32_e32 v37, v134, v26
	v_fma_f32 v81, v146, v51, -v2
	v_mul_f32_e32 v2, v157, v54
	v_sub_f32_e32 v3, v63, v32
	v_mov_b32_e32 v26, v24
	v_fma_f32 v83, v156, v55, -v2
	v_mul_f32_e32 v2, v159, v28
	v_fmac_f32_e32 v26, 0xbf737871, v3
	v_sub_f32_e32 v25, v65, v30
	v_sub_f32_e32 v27, v62, v64
	v_sub_f32_e32 v28, v31, v66
	v_fmac_f32_e32 v24, 0x3f737871, v3
	v_fma_f32 v85, v158, v29, -v2
	v_mul_f32_e32 v2, v153, v58
	v_fmac_f32_e32 v26, 0xbf167918, v25
	v_add_f32_e32 v27, v27, v28
	v_fmac_f32_e32 v24, 0x3f167918, v25
	v_fma_f32 v87, v152, v59, -v2
	s_waitcnt lgkmcnt(0)
	v_mul_f32_e32 v2, v155, v60
	v_fmac_f32_e32 v26, 0x3e9e377a, v27
	v_fmac_f32_e32 v24, 0x3e9e377a, v27
	v_add_f32_e32 v27, v62, v31
	v_fma_f32 v88, v154, v61, -v2
	v_add_f32_e32 v2, v4, v62
	v_fma_f32 v4, -0.5, v27, v4
	v_mov_b32_e32 v28, v4
	v_add_f32_e32 v2, v2, v64
	v_fmac_f32_e32 v28, 0x3f737871, v25
	v_sub_f32_e32 v27, v64, v62
	v_sub_f32_e32 v29, v66, v31
	v_fmac_f32_e32 v4, 0xbf737871, v25
	v_add_f32_e32 v25, v65, v30
	v_add_f32_e32 v2, v2, v66
	v_fmac_f32_e32 v28, 0xbf167918, v3
	v_add_f32_e32 v27, v27, v29
	v_fmac_f32_e32 v4, 0x3f167918, v3
	v_fma_f32 v25, -0.5, v25, v5
	v_mul_f32_e32 v41, v131, v35
	v_add_f32_e32 v2, v2, v31
	v_fmac_f32_e32 v28, 0x3e9e377a, v27
	v_fmac_f32_e32 v4, 0x3e9e377a, v27
	v_sub_f32_e32 v31, v62, v31
	v_mov_b32_e32 v27, v25
	v_fmac_f32_e32 v41, v130, v34
	v_fmac_f32_e32 v27, 0x3f737871, v31
	v_sub_f32_e32 v33, v64, v66
	v_sub_f32_e32 v29, v63, v65
	;; [unrolled: 1-line block ×3, first 2 shown]
	v_fmac_f32_e32 v25, 0xbf737871, v31
	v_fmac_f32_e32 v27, 0x3f167918, v33
	v_add_f32_e32 v29, v29, v34
	v_fmac_f32_e32 v25, 0xbf167918, v33
	v_fmac_f32_e32 v27, 0x3e9e377a, v29
	;; [unrolled: 1-line block ×3, first 2 shown]
	v_add_f32_e32 v29, v63, v32
	v_add_f32_e32 v3, v5, v63
	v_fma_f32 v5, -0.5, v29, v5
	v_mov_b32_e32 v29, v5
	v_add_f32_e32 v3, v3, v65
	v_fmac_f32_e32 v29, 0xbf737871, v33
	v_fmac_f32_e32 v5, 0x3f737871, v33
	v_add_f32_e32 v3, v3, v30
	v_fmac_f32_e32 v29, 0x3f167918, v31
	v_fmac_f32_e32 v5, 0xbf167918, v31
	v_add_f32_e32 v31, v37, v70
	v_add_f32_e32 v3, v3, v32
	v_sub_f32_e32 v34, v65, v63
	v_sub_f32_e32 v30, v30, v32
	v_fma_f32 v32, -0.5, v31, v6
	v_add_f32_e32 v30, v34, v30
	v_sub_f32_e32 v31, v68, v71
	v_mov_b32_e32 v34, v32
	v_fmac_f32_e32 v34, 0xbf737871, v31
	v_sub_f32_e32 v33, v69, v40
	v_sub_f32_e32 v35, v67, v37
	;; [unrolled: 1-line block ×3, first 2 shown]
	v_fmac_f32_e32 v32, 0x3f737871, v31
	v_fmac_f32_e32 v34, 0xbf167918, v33
	v_add_f32_e32 v35, v35, v36
	v_fmac_f32_e32 v32, 0x3f167918, v33
	v_fmac_f32_e32 v34, 0x3e9e377a, v35
	;; [unrolled: 1-line block ×3, first 2 shown]
	v_add_f32_e32 v35, v67, v41
	v_fmac_f32_e32 v29, 0x3e9e377a, v30
	v_fmac_f32_e32 v5, 0x3e9e377a, v30
	v_add_f32_e32 v30, v6, v67
	v_fma_f32 v6, -0.5, v35, v6
	v_mov_b32_e32 v36, v6
	v_fmac_f32_e32 v36, 0x3f737871, v33
	v_sub_f32_e32 v35, v37, v67
	v_sub_f32_e32 v38, v70, v41
	v_fmac_f32_e32 v6, 0xbf737871, v33
	v_add_f32_e32 v33, v69, v40
	v_add_f32_e32 v30, v30, v37
	v_fmac_f32_e32 v36, 0xbf167918, v31
	v_add_f32_e32 v35, v35, v38
	v_fmac_f32_e32 v6, 0x3f167918, v31
	v_fma_f32 v33, -0.5, v33, v7
	v_add_f32_e32 v30, v30, v70
	v_fmac_f32_e32 v36, 0x3e9e377a, v35
	v_fmac_f32_e32 v6, 0x3e9e377a, v35
	v_sub_f32_e32 v38, v67, v41
	v_mov_b32_e32 v35, v33
	v_add_f32_e32 v30, v30, v41
	v_fmac_f32_e32 v35, 0x3f737871, v38
	v_sub_f32_e32 v39, v37, v70
	v_sub_f32_e32 v37, v68, v69
	;; [unrolled: 1-line block ×3, first 2 shown]
	v_fmac_f32_e32 v33, 0xbf737871, v38
	v_fmac_f32_e32 v35, 0x3f167918, v39
	v_add_f32_e32 v37, v37, v41
	v_fmac_f32_e32 v33, 0xbf167918, v39
	v_fmac_f32_e32 v35, 0x3e9e377a, v37
	;; [unrolled: 1-line block ×3, first 2 shown]
	v_add_f32_e32 v37, v68, v71
	v_add_f32_e32 v31, v7, v68
	v_fmac_f32_e32 v7, -0.5, v37
	v_add_f32_e32 v31, v31, v69
	v_mov_b32_e32 v37, v7
	v_fmac_f32_e32 v45, v136, v42
	v_add_f32_e32 v31, v31, v40
	v_fmac_f32_e32 v37, 0xbf737871, v39
	v_sub_f32_e32 v41, v69, v68
	v_sub_f32_e32 v40, v40, v71
	v_fmac_f32_e32 v7, 0x3f737871, v39
	v_fmac_f32_e32 v37, 0x3f167918, v38
	v_add_f32_e32 v40, v41, v40
	v_fmac_f32_e32 v7, 0xbf167918, v38
	v_add_f32_e32 v39, v74, v45
	v_fmac_f32_e32 v37, 0x3e9e377a, v40
	v_fmac_f32_e32 v7, 0x3e9e377a, v40
	v_fma_f32 v40, -0.5, v39, v8
	v_mul_f32_e32 v53, v151, v47
	v_sub_f32_e32 v39, v73, v48
	v_mov_b32_e32 v42, v40
	v_fmac_f32_e32 v53, v150, v46
	v_fmac_f32_e32 v42, 0xbf737871, v39
	v_sub_f32_e32 v41, v75, v76
	v_sub_f32_e32 v44, v72, v74
	;; [unrolled: 1-line block ×3, first 2 shown]
	v_fmac_f32_e32 v40, 0x3f737871, v39
	v_fmac_f32_e32 v42, 0xbf167918, v41
	v_add_f32_e32 v44, v44, v46
	v_fmac_f32_e32 v40, 0x3f167918, v41
	v_fmac_f32_e32 v42, 0x3e9e377a, v44
	;; [unrolled: 1-line block ×3, first 2 shown]
	v_add_f32_e32 v44, v72, v43
	v_add_f32_e32 v38, v8, v72
	v_fma_f32 v8, -0.5, v44, v8
	v_mov_b32_e32 v44, v8
	v_add_f32_e32 v38, v38, v74
	v_fmac_f32_e32 v44, 0x3f737871, v41
	v_sub_f32_e32 v46, v74, v72
	v_sub_f32_e32 v47, v45, v43
	v_fmac_f32_e32 v8, 0xbf737871, v41
	v_add_f32_e32 v41, v75, v76
	v_add_f32_e32 v38, v38, v45
	v_fmac_f32_e32 v44, 0xbf167918, v39
	v_add_f32_e32 v46, v46, v47
	v_fmac_f32_e32 v8, 0x3f167918, v39
	v_fma_f32 v41, -0.5, v41, v9
	v_add_f32_e32 v38, v38, v43
	v_fmac_f32_e32 v44, 0x3e9e377a, v46
	v_fmac_f32_e32 v8, 0x3e9e377a, v46
	v_sub_f32_e32 v46, v72, v43
	v_mov_b32_e32 v43, v41
	v_fmac_f32_e32 v43, 0x3f737871, v46
	v_sub_f32_e32 v47, v74, v45
	v_sub_f32_e32 v45, v73, v75
	;; [unrolled: 1-line block ×3, first 2 shown]
	v_fmac_f32_e32 v41, 0xbf737871, v46
	v_fmac_f32_e32 v43, 0x3f167918, v47
	v_add_f32_e32 v45, v45, v49
	v_fmac_f32_e32 v41, 0xbf167918, v47
	v_add_f32_e32 v39, v9, v73
	v_fmac_f32_e32 v43, 0x3e9e377a, v45
	v_fmac_f32_e32 v41, 0x3e9e377a, v45
	v_add_f32_e32 v45, v73, v48
	v_add_f32_e32 v39, v39, v75
	v_fma_f32 v9, -0.5, v45, v9
	v_add_f32_e32 v39, v39, v76
	v_mov_b32_e32 v45, v9
	v_add_f32_e32 v39, v39, v48
	v_fmac_f32_e32 v45, 0xbf737871, v47
	v_sub_f32_e32 v49, v75, v73
	v_sub_f32_e32 v48, v76, v48
	v_fmac_f32_e32 v9, 0x3f737871, v47
	v_fmac_f32_e32 v45, 0x3f167918, v46
	v_add_f32_e32 v48, v49, v48
	v_fmac_f32_e32 v9, 0xbf167918, v46
	v_add_f32_e32 v47, v53, v80
	v_mul_f32_e32 v57, v147, v51
	v_fmac_f32_e32 v45, 0x3e9e377a, v48
	v_fmac_f32_e32 v9, 0x3e9e377a, v48
	v_fma_f32 v48, -0.5, v47, v10
	v_fmac_f32_e32 v57, v146, v50
	v_sub_f32_e32 v47, v78, v81
	v_mov_b32_e32 v50, v48
	v_fmac_f32_e32 v50, 0xbf737871, v47
	v_sub_f32_e32 v49, v79, v56
	v_sub_f32_e32 v51, v77, v53
	;; [unrolled: 1-line block ×3, first 2 shown]
	v_fmac_f32_e32 v48, 0x3f737871, v47
	v_fmac_f32_e32 v50, 0xbf167918, v49
	v_add_f32_e32 v51, v51, v52
	v_fmac_f32_e32 v48, 0x3f167918, v49
	v_fmac_f32_e32 v50, 0x3e9e377a, v51
	;; [unrolled: 1-line block ×3, first 2 shown]
	v_add_f32_e32 v51, v77, v57
	v_add_f32_e32 v46, v10, v77
	v_fma_f32 v10, -0.5, v51, v10
	v_mov_b32_e32 v52, v10
	v_fmac_f32_e32 v52, 0x3f737871, v49
	v_sub_f32_e32 v51, v53, v77
	v_sub_f32_e32 v54, v80, v57
	v_fmac_f32_e32 v10, 0xbf737871, v49
	v_add_f32_e32 v49, v79, v56
	v_add_f32_e32 v46, v46, v53
	v_fmac_f32_e32 v52, 0xbf167918, v47
	v_add_f32_e32 v51, v51, v54
	v_fmac_f32_e32 v10, 0x3f167918, v47
	v_fma_f32 v49, -0.5, v49, v11
	v_add_f32_e32 v46, v46, v80
	v_fmac_f32_e32 v52, 0x3e9e377a, v51
	v_fmac_f32_e32 v10, 0x3e9e377a, v51
	v_sub_f32_e32 v54, v77, v57
	v_mov_b32_e32 v51, v49
	v_add_f32_e32 v46, v46, v57
	v_fmac_f32_e32 v51, 0x3f737871, v54
	v_sub_f32_e32 v55, v53, v80
	v_sub_f32_e32 v53, v78, v79
	;; [unrolled: 1-line block ×3, first 2 shown]
	v_fmac_f32_e32 v49, 0xbf737871, v54
	v_fmac_f32_e32 v51, 0x3f167918, v55
	v_add_f32_e32 v53, v53, v57
	v_fmac_f32_e32 v49, 0xbf167918, v55
	v_fmac_f32_e32 v51, 0x3e9e377a, v53
	;; [unrolled: 1-line block ×3, first 2 shown]
	v_add_f32_e32 v53, v78, v81
	v_add_f32_e32 v47, v11, v78
	v_fmac_f32_e32 v11, -0.5, v53
	v_mul_f32_e32 v86, v153, v59
	v_add_f32_e32 v47, v47, v79
	v_mov_b32_e32 v53, v11
	v_fmac_f32_e32 v86, v152, v58
	v_add_f32_e32 v47, v47, v56
	v_fmac_f32_e32 v53, 0xbf737871, v55
	v_sub_f32_e32 v57, v79, v78
	v_sub_f32_e32 v56, v56, v81
	v_fmac_f32_e32 v11, 0x3f737871, v55
	v_fmac_f32_e32 v53, 0x3f167918, v54
	v_add_f32_e32 v56, v57, v56
	v_fmac_f32_e32 v11, 0xbf167918, v54
	v_add_f32_e32 v55, v84, v86
	v_mul_f32_e32 v59, v155, v61
	v_fmac_f32_e32 v53, 0x3e9e377a, v56
	v_fmac_f32_e32 v11, 0x3e9e377a, v56
	v_fma_f32 v56, -0.5, v55, v0
	v_fmac_f32_e32 v59, v154, v60
	v_sub_f32_e32 v55, v83, v88
	v_mov_b32_e32 v58, v56
	v_fmac_f32_e32 v58, 0xbf737871, v55
	v_sub_f32_e32 v57, v85, v87
	v_sub_f32_e32 v60, v82, v84
	;; [unrolled: 1-line block ×3, first 2 shown]
	v_fmac_f32_e32 v56, 0x3f737871, v55
	v_fmac_f32_e32 v58, 0xbf167918, v57
	v_add_f32_e32 v60, v60, v61
	v_fmac_f32_e32 v56, 0x3f167918, v57
	v_fmac_f32_e32 v58, 0x3e9e377a, v60
	;; [unrolled: 1-line block ×3, first 2 shown]
	v_add_f32_e32 v60, v82, v59
	v_add_f32_e32 v54, v0, v82
	v_fma_f32 v0, -0.5, v60, v0
	v_mov_b32_e32 v60, v0
	v_add_f32_e32 v54, v54, v84
	v_fmac_f32_e32 v60, 0x3f737871, v57
	v_fmac_f32_e32 v0, 0xbf737871, v57
	v_add_f32_e32 v57, v85, v87
	v_add_f32_e32 v54, v54, v86
	v_sub_f32_e32 v61, v84, v82
	v_sub_f32_e32 v62, v86, v59
	v_fma_f32 v57, -0.5, v57, v1
	v_add_f32_e32 v54, v54, v59
	v_fmac_f32_e32 v60, 0xbf167918, v55
	v_add_f32_e32 v61, v61, v62
	v_fmac_f32_e32 v0, 0x3f167918, v55
	v_sub_f32_e32 v62, v82, v59
	v_mov_b32_e32 v59, v57
	v_fmac_f32_e32 v60, 0x3e9e377a, v61
	v_fmac_f32_e32 v0, 0x3e9e377a, v61
	;; [unrolled: 1-line block ×3, first 2 shown]
	v_sub_f32_e32 v63, v84, v86
	v_sub_f32_e32 v61, v83, v85
	;; [unrolled: 1-line block ×3, first 2 shown]
	v_fmac_f32_e32 v57, 0xbf737871, v62
	v_fmac_f32_e32 v59, 0x3f167918, v63
	v_add_f32_e32 v61, v61, v64
	v_fmac_f32_e32 v57, 0xbf167918, v63
	v_fmac_f32_e32 v59, 0x3e9e377a, v61
	;; [unrolled: 1-line block ×3, first 2 shown]
	v_add_f32_e32 v61, v83, v88
	v_add_f32_e32 v55, v1, v83
	v_fmac_f32_e32 v1, -0.5, v61
	v_mov_b32_e32 v61, v1
	v_sub_f32_e32 v64, v85, v83
	v_sub_f32_e32 v65, v87, v88
	v_fmac_f32_e32 v1, 0x3f737871, v63
	v_add_f32_e32 v55, v55, v85
	v_fmac_f32_e32 v61, 0xbf737871, v63
	v_add_f32_e32 v64, v64, v65
	;; [unrolled: 2-line block ×3, first 2 shown]
	v_add_f32_e32 v47, v47, v81
	v_add_f32_e32 v55, v55, v87
	v_fmac_f32_e32 v61, 0x3f167918, v62
	v_fmac_f32_e32 v1, 0x3e9e377a, v64
	ds_write_b64 v216, v[26:27] offset:3600
	ds_write_b64 v216, v[28:29] offset:7200
	;; [unrolled: 1-line block ×4, first 2 shown]
	ds_write2_b64 v216, v[2:3], v[30:31] offset1:90
	ds_write_b64 v216, v[36:37] offset:7920
	ds_write_b64 v216, v[6:7] offset:11520
	ds_write_b64 v216, v[32:33] offset:15120
	ds_write2_b64 v21, v[34:35], v[42:43] offset0:28 offset1:118
	ds_write2_b64 v22, v[38:39], v[46:47] offset0:52 offset1:142
	;; [unrolled: 1-line block ×3, first 2 shown]
	v_add_u32_e32 v2, 0x2c00, v216
	v_add_f32_e32 v55, v55, v88
	v_fmac_f32_e32 v61, 0x3e9e377a, v64
	ds_write2_b64 v2, v[8:9], v[10:11] offset0:122 offset1:212
	ds_write2_b64 v14, v[40:41], v[48:49] offset0:60 offset1:150
	ds_write_b64 v216, v[54:55] offset:2880
	ds_write2_b64 v23, v[50:51], v[58:59] offset0:80 offset1:170
	ds_write_b64 v216, v[60:61] offset:10080
	ds_write_b64 v216, v[0:1] offset:13680
	;; [unrolled: 1-line block ×3, first 2 shown]
	s_waitcnt lgkmcnt(0)
	s_barrier
	ds_read2_b64 v[0:3], v216 offset1:90
	buffer_load_dword v6, off, s[20:23], 0 offset:208 ; 4-byte Folded Reload
	buffer_load_dword v7, off, s[20:23], 0 offset:212 ; 4-byte Folded Reload
	s_mov_b32 s3, 0x3f3d208a
	v_mad_u64_u32 v[8:9], s[4:5], s12, v217, 0
	s_waitcnt vmcnt(0) lgkmcnt(0)
	v_mul_f32_e32 v4, v7, v1
	v_fmac_f32_e32 v4, v6, v0
	v_cvt_f64_f32_e32 v[4:5], v4
	v_mul_f32_e32 v0, v7, v0
	v_fma_f32 v0, v6, v1, -v0
	v_mov_b32_e32 v6, v9
	v_mul_f64 v[4:5], v[4:5], s[2:3]
	v_mad_u64_u32 v[9:10], s[4:5], s13, v217, v[6:7]
	v_cvt_f64_f32_e32 v[0:1], v0
	s_mul_i32 s4, s13, 0xe1
	v_lshlrev_b64 v[8:9], 3, v[8:9]
	s_mul_hi_u32 s5, s12, 0xe1
	v_mul_f64 v[0:1], v[0:1], s[2:3]
	v_cvt_f32_f64_e32 v10, v[4:5]
	ds_read2_b64 v[4:7], v22 offset0:97 offset1:187
	buffer_load_dword v23, off, s[20:23], 0 offset:96 ; 4-byte Folded Reload
	buffer_load_dword v24, off, s[20:23], 0 offset:100 ; 4-byte Folded Reload
	v_mov_b32_e32 v22, s17
	s_add_i32 s5, s5, s4
	s_mul_i32 s4, s12, 0xe1
	s_lshl_b64 s[4:5], s[4:5], 3
	v_cvt_f32_f64_e32 v11, v[0:1]
	v_lshlrev_b64 v[0:1], 3, v[12:13]
	v_mov_b32_e32 v37, s5
	s_waitcnt vmcnt(0) lgkmcnt(0)
	v_mul_f32_e32 v12, v24, v5
	v_fmac_f32_e32 v12, v23, v4
	v_cvt_f64_f32_e32 v[12:13], v12
	v_mul_f32_e32 v4, v24, v4
	v_fma_f32 v4, v23, v5, -v4
	v_add_co_u32_e32 v23, vcc, s16, v0
	v_addc_co_u32_e32 v22, vcc, v22, v1, vcc
	v_mul_f64 v[0:1], v[12:13], s[2:3]
	v_add_co_u32_e32 v12, vcc, v23, v8
	v_addc_co_u32_e32 v13, vcc, v22, v9, vcc
	global_store_dwordx2 v[12:13], v[10:11], off
	ds_read2_b64 v[8:11], v16 offset0:66 offset1:156
	buffer_load_dword v22, off, s[20:23], 0 offset:88 ; 4-byte Folded Reload
	buffer_load_dword v23, off, s[20:23], 0 offset:92 ; 4-byte Folded Reload
	v_cvt_f64_f32_e32 v[4:5], v4
	v_cvt_f32_f64_e32 v0, v[0:1]
	v_add_co_u32_e32 v12, vcc, s4, v12
	v_mul_f64 v[4:5], v[4:5], s[2:3]
	v_addc_co_u32_e32 v13, vcc, v13, v37, vcc
	v_cvt_f32_f64_e32 v1, v[4:5]
	global_store_dwordx2 v[12:13], v[0:1], off
	v_add_co_u32_e32 v12, vcc, s4, v12
	v_addc_co_u32_e32 v13, vcc, v13, v37, vcc
	s_waitcnt vmcnt(1) lgkmcnt(0)
	v_mul_f32_e32 v4, v23, v9
	v_fmac_f32_e32 v4, v22, v8
	v_mul_f32_e32 v8, v23, v8
	v_fma_f32 v8, v22, v9, -v8
	ds_read2_b64 v[21:24], v21 offset0:163 offset1:253
	buffer_load_dword v25, off, s[20:23], 0 offset:80 ; 4-byte Folded Reload
	buffer_load_dword v26, off, s[20:23], 0 offset:84 ; 4-byte Folded Reload
	v_cvt_f64_f32_e32 v[4:5], v4
	v_cvt_f64_f32_e32 v[8:9], v8
	ds_read2_b64 v[29:32], v18 offset0:70 offset1:160
	ds_read2_b64 v[33:36], v15 offset0:8 offset1:98
	v_mul_f64 v[4:5], v[4:5], s[2:3]
	v_mul_f64 v[8:9], v[8:9], s[2:3]
	v_cvt_f32_f64_e32 v0, v[4:5]
	v_cvt_f32_f64_e32 v1, v[8:9]
	global_store_dwordx2 v[12:13], v[0:1], off
	v_add_co_u32_e32 v12, vcc, s4, v12
	v_addc_co_u32_e32 v13, vcc, v13, v37, vcc
	s_waitcnt vmcnt(1) lgkmcnt(2)
	v_mul_f32_e32 v4, v26, v22
	v_mul_f32_e32 v8, v26, v21
	v_fmac_f32_e32 v4, v25, v21
	v_fma_f32 v8, v25, v22, -v8
	v_cvt_f64_f32_e32 v[4:5], v4
	v_cvt_f64_f32_e32 v[8:9], v8
	ds_read2_b64 v[25:28], v20 offset0:132 offset1:222
	v_mul_f64 v[0:1], v[4:5], s[2:3]
	v_mul_f64 v[4:5], v[8:9], s[2:3]
	s_waitcnt lgkmcnt(0)
	v_mul_f32_e32 v8, v255, v26
	v_mul_f32_e32 v16, v255, v25
	v_fmac_f32_e32 v8, v254, v25
	v_fma_f32 v16, v254, v26, -v16
	v_cvt_f64_f32_e32 v[8:9], v8
	v_cvt_f64_f32_e32 v[20:21], v16
	v_cvt_f32_f64_e32 v0, v[0:1]
	v_cvt_f32_f64_e32 v1, v[4:5]
	v_mul_f64 v[4:5], v[8:9], s[2:3]
	v_mul_f64 v[8:9], v[20:21], s[2:3]
	ds_read2_b64 v[19:22], v19 offset0:101 offset1:191
	global_store_dwordx2 v[12:13], v[0:1], off
	v_add_co_u32_e32 v12, vcc, s4, v12
	v_addc_co_u32_e32 v13, vcc, v13, v37, vcc
	v_cvt_f32_f64_e32 v0, v[4:5]
	v_cvt_f32_f64_e32 v1, v[8:9]
	s_waitcnt lgkmcnt(0)
	v_mul_f32_e32 v4, v249, v20
	v_mul_f32_e32 v8, v249, v19
	v_fmac_f32_e32 v4, v248, v19
	v_fma_f32 v8, v248, v20, -v8
	v_cvt_f64_f32_e32 v[4:5], v4
	v_cvt_f64_f32_e32 v[8:9], v8
	global_store_dwordx2 v[12:13], v[0:1], off
	v_mul_f32_e32 v16, v253, v29
	v_mul_f64 v[0:1], v[4:5], s[2:3]
	v_mul_f64 v[4:5], v[8:9], s[2:3]
	v_mul_f32_e32 v8, v253, v30
	v_fmac_f32_e32 v8, v252, v29
	v_fma_f32 v16, v252, v30, -v16
	v_cvt_f64_f32_e32 v[8:9], v8
	v_cvt_f64_f32_e32 v[18:19], v16
	v_add_co_u32_e32 v12, vcc, s4, v12
	v_cvt_f32_f64_e32 v0, v[0:1]
	v_cvt_f32_f64_e32 v1, v[4:5]
	v_mul_f64 v[4:5], v[8:9], s[2:3]
	v_mul_f64 v[8:9], v[18:19], s[2:3]
	ds_read2_b64 v[16:19], v17 offset0:39 offset1:129
	v_addc_co_u32_e32 v13, vcc, v13, v37, vcc
	global_store_dwordx2 v[12:13], v[0:1], off
	v_cvt_f32_f64_e32 v0, v[4:5]
	v_cvt_f32_f64_e32 v1, v[8:9]
	s_waitcnt lgkmcnt(0)
	v_mul_f32_e32 v4, v251, v17
	v_fmac_f32_e32 v4, v250, v16
	v_mul_f32_e32 v8, v251, v16
	v_add_co_u32_e32 v16, vcc, s4, v12
	v_fma_f32 v8, v250, v17, -v8
	v_addc_co_u32_e32 v17, vcc, v13, v37, vcc
	global_store_dwordx2 v[16:17], v[0:1], off
	buffer_load_dword v25, off, s[20:23], 0 offset:216 ; 4-byte Folded Reload
	buffer_load_dword v26, off, s[20:23], 0 offset:220 ; 4-byte Folded Reload
	v_cvt_f64_f32_e32 v[4:5], v4
	v_cvt_f64_f32_e32 v[8:9], v8
	v_add_co_u32_e32 v16, vcc, s4, v16
	v_mul_f64 v[0:1], v[4:5], s[2:3]
	v_mul_f64 v[4:5], v[8:9], s[2:3]
	v_addc_co_u32_e32 v17, vcc, v17, v37, vcc
	v_cvt_f32_f64_e32 v0, v[0:1]
	v_cvt_f32_f64_e32 v1, v[4:5]
	global_store_dwordx2 v[16:17], v[0:1], off
	s_waitcnt vmcnt(1)
	v_mul_f32_e32 v8, v26, v34
	v_mul_f32_e32 v12, v26, v33
	v_fmac_f32_e32 v8, v25, v33
	v_fma_f32 v12, v25, v34, -v12
	v_cvt_f64_f32_e32 v[8:9], v8
	v_cvt_f64_f32_e32 v[12:13], v12
	v_mul_f64 v[4:5], v[8:9], s[2:3]
	v_mul_f64 v[8:9], v[12:13], s[2:3]
	ds_read2_b64 v[12:15], v14 offset0:105 offset1:195
	buffer_load_dword v25, off, s[20:23], 0 offset:104 ; 4-byte Folded Reload
	buffer_load_dword v26, off, s[20:23], 0 offset:108 ; 4-byte Folded Reload
	v_cvt_f32_f64_e32 v0, v[4:5]
	v_cvt_f32_f64_e32 v1, v[8:9]
	s_waitcnt vmcnt(0) lgkmcnt(0)
	v_mul_f32_e32 v4, v26, v13
	v_mul_f32_e32 v8, v26, v12
	v_fmac_f32_e32 v4, v25, v12
	v_fma_f32 v8, v25, v13, -v8
	v_cvt_f64_f32_e32 v[4:5], v4
	v_cvt_f64_f32_e32 v[8:9], v8
	buffer_load_dword v25, off, s[20:23], 0 offset:64 ; 4-byte Folded Reload
	buffer_load_dword v26, off, s[20:23], 0 offset:68 ; 4-byte Folded Reload
	v_add_co_u32_e32 v12, vcc, s4, v16
	v_mul_f64 v[4:5], v[4:5], s[2:3]
	v_mul_f64 v[8:9], v[8:9], s[2:3]
	v_addc_co_u32_e32 v13, vcc, v17, v37, vcc
	global_store_dwordx2 v[12:13], v[0:1], off
	v_cvt_f32_f64_e32 v0, v[4:5]
	v_cvt_f32_f64_e32 v1, v[8:9]
	v_add_co_u32_e32 v8, vcc, s4, v12
	v_addc_co_u32_e32 v9, vcc, v13, v37, vcc
	global_store_dwordx2 v[8:9], v[0:1], off
	buffer_load_dword v12, off, s[20:23], 0 offset:8 ; 4-byte Folded Reload
	buffer_load_dword v13, off, s[20:23], 0 offset:12 ; 4-byte Folded Reload
	s_waitcnt vmcnt(4)
	v_mul_f32_e32 v16, v26, v3
	v_fmac_f32_e32 v16, v25, v2
	v_mul_f32_e32 v2, v26, v2
	v_fma_f32 v2, v25, v3, -v2
	v_cvt_f64_f32_e32 v[16:17], v16
	v_cvt_f64_f32_e32 v[2:3], v2
	v_mul_f64 v[4:5], v[16:17], s[2:3]
	v_mul_f64 v[2:3], v[2:3], s[2:3]
	v_cvt_f32_f64_e32 v0, v[4:5]
	v_cvt_f32_f64_e32 v1, v[2:3]
	s_waitcnt vmcnt(0)
	v_mul_f32_e32 v2, v13, v7
	v_mul_f32_e32 v4, v13, v6
	v_fmac_f32_e32 v2, v12, v6
	v_fma_f32 v4, v12, v7, -v4
	v_mov_b32_e32 v7, s7
	v_add_co_u32_e32 v6, vcc, s6, v8
	v_addc_co_u32_e32 v7, vcc, v9, v7, vcc
	global_store_dwordx2 v[6:7], v[0:1], off
	buffer_load_dword v8, off, s[20:23], 0 offset:32 ; 4-byte Folded Reload
	buffer_load_dword v9, off, s[20:23], 0 offset:36 ; 4-byte Folded Reload
	v_cvt_f64_f32_e32 v[4:5], v4
	v_cvt_f64_f32_e32 v[2:3], v2
	v_add_co_u32_e32 v6, vcc, s4, v6
	v_mul_f64 v[4:5], v[4:5], s[2:3]
	v_mul_f64 v[2:3], v[2:3], s[2:3]
	v_addc_co_u32_e32 v7, vcc, v7, v37, vcc
	v_cvt_f32_f64_e32 v1, v[4:5]
	v_cvt_f32_f64_e32 v0, v[2:3]
	s_waitcnt vmcnt(0)
	v_mul_f32_e32 v4, v9, v10
	v_mul_f32_e32 v2, v9, v11
	v_fma_f32 v4, v8, v11, -v4
	buffer_load_dword v11, off, s[20:23], 0 ; 4-byte Folded Reload
	buffer_load_dword v12, off, s[20:23], 0 offset:4 ; 4-byte Folded Reload
	v_fmac_f32_e32 v2, v8, v10
	v_cvt_f64_f32_e32 v[2:3], v2
	v_cvt_f64_f32_e32 v[4:5], v4
	global_store_dwordx2 v[6:7], v[0:1], off
	v_mul_f64 v[2:3], v[2:3], s[2:3]
	v_mul_f64 v[4:5], v[4:5], s[2:3]
	v_cvt_f32_f64_e32 v0, v[2:3]
	v_cvt_f32_f64_e32 v1, v[4:5]
	v_add_co_u32_e32 v4, vcc, s4, v6
	v_addc_co_u32_e32 v5, vcc, v7, v37, vcc
	global_store_dwordx2 v[4:5], v[0:1], off
	v_add_co_u32_e32 v4, vcc, s4, v4
	v_addc_co_u32_e32 v5, vcc, v5, v37, vcc
	s_waitcnt vmcnt(2)
	v_mul_f32_e32 v8, v12, v24
	v_mul_f32_e32 v10, v12, v23
	v_fmac_f32_e32 v8, v11, v23
	v_fma_f32 v10, v11, v24, -v10
	v_cvt_f64_f32_e32 v[8:9], v8
	v_cvt_f64_f32_e32 v[10:11], v10
	v_mul_f64 v[2:3], v[8:9], s[2:3]
	v_mul_f64 v[8:9], v[10:11], s[2:3]
	v_cvt_f32_f64_e32 v0, v[2:3]
	v_cvt_f32_f64_e32 v1, v[8:9]
	buffer_load_dword v7, off, s[20:23], 0 offset:56 ; 4-byte Folded Reload
	buffer_load_dword v8, off, s[20:23], 0 offset:60 ; 4-byte Folded Reload
	;; [unrolled: 1-line block ×4, first 2 shown]
	s_waitcnt vmcnt(2)
	v_mul_f32_e32 v2, v8, v28
	v_fmac_f32_e32 v2, v7, v27
	v_cvt_f64_f32_e32 v[2:3], v2
	v_mul_f32_e32 v6, v8, v27
	v_fma_f32 v6, v7, v28, -v6
	v_cvt_f64_f32_e32 v[6:7], v6
	v_mul_f64 v[2:3], v[2:3], s[2:3]
	s_waitcnt vmcnt(0)
	v_mul_f32_e32 v8, v12, v22
	v_mul_f32_e32 v10, v12, v21
	v_mul_f64 v[6:7], v[6:7], s[2:3]
	v_fmac_f32_e32 v8, v11, v21
	v_fma_f32 v10, v11, v22, -v10
	v_cvt_f64_f32_e32 v[8:9], v8
	v_cvt_f64_f32_e32 v[10:11], v10
	global_store_dwordx2 v[4:5], v[0:1], off
	v_cvt_f32_f64_e32 v0, v[2:3]
	v_mul_f64 v[2:3], v[8:9], s[2:3]
	v_mul_f64 v[8:9], v[10:11], s[2:3]
	v_cvt_f32_f64_e32 v1, v[6:7]
	v_add_co_u32_e32 v4, vcc, s4, v4
	v_addc_co_u32_e32 v5, vcc, v5, v37, vcc
	global_store_dwordx2 v[4:5], v[0:1], off
	v_cvt_f32_f64_e32 v0, v[2:3]
	v_cvt_f32_f64_e32 v1, v[8:9]
	buffer_load_dword v7, off, s[20:23], 0 offset:40 ; 4-byte Folded Reload
	buffer_load_dword v8, off, s[20:23], 0 offset:44 ; 4-byte Folded Reload
	;; [unrolled: 1-line block ×4, first 2 shown]
	v_add_co_u32_e32 v4, vcc, s4, v4
	v_addc_co_u32_e32 v5, vcc, v5, v37, vcc
	global_store_dwordx2 v[4:5], v[0:1], off
	v_add_co_u32_e32 v4, vcc, s4, v4
	v_addc_co_u32_e32 v5, vcc, v5, v37, vcc
	s_waitcnt vmcnt(3)
	v_mul_f32_e32 v2, v8, v32
	v_fmac_f32_e32 v2, v7, v31
	v_cvt_f64_f32_e32 v[2:3], v2
	v_mul_f32_e32 v6, v8, v31
	v_fma_f32 v6, v7, v32, -v6
	v_cvt_f64_f32_e32 v[6:7], v6
	v_mul_f64 v[2:3], v[2:3], s[2:3]
	s_waitcnt vmcnt(1)
	v_mul_f32_e32 v8, v12, v19
	v_mul_f32_e32 v10, v12, v18
	v_mul_f64 v[6:7], v[6:7], s[2:3]
	v_fmac_f32_e32 v8, v11, v18
	v_fma_f32 v10, v11, v19, -v10
	v_cvt_f64_f32_e32 v[8:9], v8
	v_cvt_f64_f32_e32 v[10:11], v10
	v_cvt_f32_f64_e32 v0, v[2:3]
	v_mul_f64 v[2:3], v[8:9], s[2:3]
	v_mul_f64 v[8:9], v[10:11], s[2:3]
	v_cvt_f32_f64_e32 v1, v[6:7]
	global_store_dwordx2 v[4:5], v[0:1], off
	v_add_co_u32_e32 v4, vcc, s4, v4
	v_cvt_f32_f64_e32 v1, v[8:9]
	buffer_load_dword v7, off, s[20:23], 0 offset:16 ; 4-byte Folded Reload
	buffer_load_dword v8, off, s[20:23], 0 offset:20 ; 4-byte Folded Reload
	;; [unrolled: 1-line block ×4, first 2 shown]
	v_cvt_f32_f64_e32 v0, v[2:3]
	v_addc_co_u32_e32 v5, vcc, v5, v37, vcc
	global_store_dwordx2 v[4:5], v[0:1], off
	v_add_co_u32_e32 v4, vcc, s4, v4
	v_addc_co_u32_e32 v5, vcc, v5, v37, vcc
	s_waitcnt vmcnt(3)
	v_mul_f32_e32 v2, v8, v36
	v_fmac_f32_e32 v2, v7, v35
	v_cvt_f64_f32_e32 v[2:3], v2
	v_mul_f32_e32 v6, v8, v35
	v_fma_f32 v6, v7, v36, -v6
	v_cvt_f64_f32_e32 v[6:7], v6
	v_mul_f64 v[2:3], v[2:3], s[2:3]
	s_waitcnt vmcnt(1)
	v_mul_f32_e32 v8, v12, v15
	v_mul_f32_e32 v10, v12, v14
	v_fmac_f32_e32 v8, v11, v14
	v_fma_f32 v10, v11, v15, -v10
	v_cvt_f64_f32_e32 v[8:9], v8
	v_cvt_f64_f32_e32 v[10:11], v10
	v_mul_f64 v[6:7], v[6:7], s[2:3]
	v_cvt_f32_f64_e32 v0, v[2:3]
	v_mul_f64 v[2:3], v[8:9], s[2:3]
	v_mul_f64 v[8:9], v[10:11], s[2:3]
	v_cvt_f32_f64_e32 v1, v[6:7]
	v_cvt_f32_f64_e32 v2, v[2:3]
	;; [unrolled: 1-line block ×3, first 2 shown]
	global_store_dwordx2 v[4:5], v[0:1], off
	v_add_co_u32_e32 v0, vcc, s4, v4
	v_addc_co_u32_e32 v1, vcc, v5, v37, vcc
	global_store_dwordx2 v[0:1], v[2:3], off
	s_and_b64 exec, exec, s[0:1]
	s_cbranch_execz .LBB0_31
; %bb.30:
	global_load_dwordx2 v[6:7], v[214:215], off offset:1440
	v_add_u32_e32 v2, 0x500, v216
	ds_read2_b64 v[2:5], v2 offset0:20 offset1:245
	v_add_co_u32_e32 v0, vcc, s6, v0
	v_mov_b32_e32 v10, s5
	s_movk_i32 s0, 0x4000
	s_waitcnt vmcnt(0) lgkmcnt(0)
	v_mul_f32_e32 v8, v3, v7
	v_mul_f32_e32 v7, v2, v7
	v_fmac_f32_e32 v8, v2, v6
	v_fma_f32 v6, v6, v3, -v7
	v_cvt_f64_f32_e32 v[2:3], v8
	v_cvt_f64_f32_e32 v[6:7], v6
	v_mov_b32_e32 v8, s7
	v_addc_co_u32_e32 v1, vcc, v1, v8, vcc
	v_mul_f64 v[2:3], v[2:3], s[2:3]
	v_mul_f64 v[6:7], v[6:7], s[2:3]
	v_cvt_f32_f64_e32 v2, v[2:3]
	v_cvt_f32_f64_e32 v3, v[6:7]
	global_store_dwordx2 v[0:1], v[2:3], off
	global_load_dwordx2 v[2:3], v[214:215], off offset:3240
	s_waitcnt vmcnt(0)
	v_mul_f32_e32 v6, v5, v3
	v_mul_f32_e32 v3, v4, v3
	v_fmac_f32_e32 v6, v4, v2
	v_fma_f32 v4, v2, v5, -v3
	v_cvt_f64_f32_e32 v[2:3], v6
	v_cvt_f64_f32_e32 v[4:5], v4
	v_add_co_u32_e32 v6, vcc, s10, v214
	v_mul_f64 v[2:3], v[2:3], s[2:3]
	v_mul_f64 v[4:5], v[4:5], s[2:3]
	v_addc_co_u32_e32 v7, vcc, 0, v215, vcc
	v_cvt_f32_f64_e32 v2, v[2:3]
	v_cvt_f32_f64_e32 v3, v[4:5]
	v_add_co_u32_e32 v4, vcc, s4, v0
	v_addc_co_u32_e32 v5, vcc, v1, v10, vcc
	global_store_dwordx2 v[4:5], v[2:3], off
	global_load_dwordx2 v[8:9], v[6:7], off offset:944
	v_add_u32_e32 v0, 0x1300, v216
	ds_read2_b64 v[0:3], v0 offset0:22 offset1:247
	v_add_co_u32_e32 v4, vcc, s4, v4
	v_addc_co_u32_e32 v5, vcc, v5, v10, vcc
	s_waitcnt vmcnt(0) lgkmcnt(0)
	v_mul_f32_e32 v11, v1, v9
	v_mul_f32_e32 v9, v0, v9
	v_fmac_f32_e32 v11, v0, v8
	v_fma_f32 v8, v8, v1, -v9
	v_cvt_f64_f32_e32 v[0:1], v11
	v_cvt_f64_f32_e32 v[8:9], v8
	v_mul_f64 v[0:1], v[0:1], s[2:3]
	v_mul_f64 v[8:9], v[8:9], s[2:3]
	v_cvt_f32_f64_e32 v0, v[0:1]
	v_cvt_f32_f64_e32 v1, v[8:9]
	global_store_dwordx2 v[4:5], v[0:1], off
	global_load_dwordx2 v[0:1], v[6:7], off offset:2744
	s_waitcnt vmcnt(0)
	v_mul_f32_e32 v6, v3, v1
	v_mul_f32_e32 v1, v2, v1
	v_fmac_f32_e32 v6, v2, v0
	v_fma_f32 v2, v0, v3, -v1
	v_cvt_f64_f32_e32 v[0:1], v6
	v_cvt_f64_f32_e32 v[2:3], v2
	v_add_co_u32_e32 v6, vcc, s9, v214
	v_mul_f64 v[0:1], v[0:1], s[2:3]
	v_mul_f64 v[2:3], v[2:3], s[2:3]
	v_addc_co_u32_e32 v7, vcc, 0, v215, vcc
	v_add_co_u32_e32 v4, vcc, s4, v4
	v_addc_co_u32_e32 v5, vcc, v5, v10, vcc
	v_cvt_f32_f64_e32 v0, v[0:1]
	v_cvt_f32_f64_e32 v1, v[2:3]
	global_store_dwordx2 v[4:5], v[0:1], off
	global_load_dwordx2 v[8:9], v[6:7], off offset:448
	v_add_u32_e32 v0, 0x2100, v216
	ds_read2_b64 v[0:3], v0 offset0:24 offset1:249
	v_add_co_u32_e32 v4, vcc, s4, v4
	v_addc_co_u32_e32 v5, vcc, v5, v10, vcc
	s_waitcnt vmcnt(0) lgkmcnt(0)
	v_mul_f32_e32 v11, v1, v9
	v_mul_f32_e32 v9, v0, v9
	v_fmac_f32_e32 v11, v0, v8
	v_fma_f32 v8, v8, v1, -v9
	v_cvt_f64_f32_e32 v[0:1], v11
	v_cvt_f64_f32_e32 v[8:9], v8
	v_mul_f64 v[0:1], v[0:1], s[2:3]
	v_mul_f64 v[8:9], v[8:9], s[2:3]
	v_cvt_f32_f64_e32 v0, v[0:1]
	v_cvt_f32_f64_e32 v1, v[8:9]
	global_store_dwordx2 v[4:5], v[0:1], off
	global_load_dwordx2 v[0:1], v[6:7], off offset:2248
	v_add_co_u32_e32 v4, vcc, s4, v4
	v_addc_co_u32_e32 v5, vcc, v5, v10, vcc
	s_waitcnt vmcnt(0)
	v_mul_f32_e32 v8, v3, v1
	v_mul_f32_e32 v1, v2, v1
	v_fmac_f32_e32 v8, v2, v0
	v_fma_f32 v2, v0, v3, -v1
	v_cvt_f64_f32_e32 v[0:1], v8
	v_cvt_f64_f32_e32 v[2:3], v2
	v_mul_f64 v[0:1], v[0:1], s[2:3]
	v_mul_f64 v[2:3], v[2:3], s[2:3]
	v_cvt_f32_f64_e32 v0, v[0:1]
	v_cvt_f32_f64_e32 v1, v[2:3]
	global_store_dwordx2 v[4:5], v[0:1], off
	global_load_dwordx2 v[6:7], v[6:7], off offset:4048
	v_add_u32_e32 v0, 0x2f00, v216
	ds_read2_b64 v[0:3], v0 offset0:26 offset1:251
	s_waitcnt vmcnt(0) lgkmcnt(0)
	v_mul_f32_e32 v8, v1, v7
	v_mul_f32_e32 v7, v0, v7
	v_fmac_f32_e32 v8, v0, v6
	v_fma_f32 v6, v6, v1, -v7
	v_cvt_f64_f32_e32 v[0:1], v8
	v_cvt_f64_f32_e32 v[6:7], v6
	v_add_co_u32_e32 v8, vcc, s8, v214
	v_mul_f64 v[0:1], v[0:1], s[2:3]
	v_mul_f64 v[6:7], v[6:7], s[2:3]
	v_addc_co_u32_e32 v9, vcc, 0, v215, vcc
	v_add_co_u32_e32 v4, vcc, s4, v4
	v_addc_co_u32_e32 v5, vcc, v5, v10, vcc
	v_cvt_f32_f64_e32 v0, v[0:1]
	v_cvt_f32_f64_e32 v1, v[6:7]
	global_store_dwordx2 v[4:5], v[0:1], off
	global_load_dwordx2 v[0:1], v[8:9], off offset:1752
	v_add_co_u32_e32 v4, vcc, s4, v4
	v_addc_co_u32_e32 v5, vcc, v5, v10, vcc
	s_waitcnt vmcnt(0)
	v_mul_f32_e32 v6, v3, v1
	v_mul_f32_e32 v1, v2, v1
	v_fmac_f32_e32 v6, v2, v0
	v_fma_f32 v2, v0, v3, -v1
	v_cvt_f64_f32_e32 v[0:1], v6
	v_cvt_f64_f32_e32 v[2:3], v2
	v_mul_f64 v[0:1], v[0:1], s[2:3]
	v_mul_f64 v[2:3], v[2:3], s[2:3]
	v_cvt_f32_f64_e32 v0, v[0:1]
	v_cvt_f32_f64_e32 v1, v[2:3]
	global_store_dwordx2 v[4:5], v[0:1], off
	global_load_dwordx2 v[6:7], v[8:9], off offset:3552
	v_add_u32_e32 v0, 0x3d00, v216
	ds_read2_b64 v[0:3], v0 offset0:28 offset1:253
	s_waitcnt vmcnt(0) lgkmcnt(0)
	v_mul_f32_e32 v8, v1, v7
	v_mul_f32_e32 v7, v0, v7
	v_fmac_f32_e32 v8, v0, v6
	v_fma_f32 v6, v6, v1, -v7
	v_cvt_f64_f32_e32 v[0:1], v8
	v_cvt_f64_f32_e32 v[6:7], v6
	v_add_co_u32_e32 v8, vcc, s0, v214
	v_mul_f64 v[0:1], v[0:1], s[2:3]
	v_mul_f64 v[6:7], v[6:7], s[2:3]
	v_addc_co_u32_e32 v9, vcc, 0, v215, vcc
	v_add_co_u32_e32 v4, vcc, s4, v4
	v_addc_co_u32_e32 v5, vcc, v5, v10, vcc
	v_cvt_f32_f64_e32 v0, v[0:1]
	v_cvt_f32_f64_e32 v1, v[6:7]
	global_store_dwordx2 v[4:5], v[0:1], off
	global_load_dwordx2 v[0:1], v[8:9], off offset:1256
	s_waitcnt vmcnt(0)
	v_mul_f32_e32 v6, v3, v1
	v_mul_f32_e32 v1, v2, v1
	v_fmac_f32_e32 v6, v2, v0
	v_fma_f32 v2, v0, v3, -v1
	v_cvt_f64_f32_e32 v[0:1], v6
	v_cvt_f64_f32_e32 v[2:3], v2
	v_mul_f64 v[0:1], v[0:1], s[2:3]
	v_mul_f64 v[2:3], v[2:3], s[2:3]
	v_cvt_f32_f64_e32 v0, v[0:1]
	v_cvt_f32_f64_e32 v1, v[2:3]
	v_add_co_u32_e32 v2, vcc, s4, v4
	v_addc_co_u32_e32 v3, vcc, v5, v10, vcc
	global_store_dwordx2 v[2:3], v[0:1], off
.LBB0_31:
	s_endpgm
	.section	.rodata,"a",@progbits
	.p2align	6, 0x0
	.amdhsa_kernel bluestein_single_fwd_len2250_dim1_sp_op_CI_CI
		.amdhsa_group_segment_fixed_size 18000
		.amdhsa_private_segment_fixed_size 232
		.amdhsa_kernarg_size 104
		.amdhsa_user_sgpr_count 6
		.amdhsa_user_sgpr_private_segment_buffer 1
		.amdhsa_user_sgpr_dispatch_ptr 0
		.amdhsa_user_sgpr_queue_ptr 0
		.amdhsa_user_sgpr_kernarg_segment_ptr 1
		.amdhsa_user_sgpr_dispatch_id 0
		.amdhsa_user_sgpr_flat_scratch_init 0
		.amdhsa_user_sgpr_private_segment_size 0
		.amdhsa_uses_dynamic_stack 0
		.amdhsa_system_sgpr_private_segment_wavefront_offset 1
		.amdhsa_system_sgpr_workgroup_id_x 1
		.amdhsa_system_sgpr_workgroup_id_y 0
		.amdhsa_system_sgpr_workgroup_id_z 0
		.amdhsa_system_sgpr_workgroup_info 0
		.amdhsa_system_vgpr_workitem_id 0
		.amdhsa_next_free_vgpr 256
		.amdhsa_next_free_sgpr 24
		.amdhsa_reserve_vcc 1
		.amdhsa_reserve_flat_scratch 0
		.amdhsa_float_round_mode_32 0
		.amdhsa_float_round_mode_16_64 0
		.amdhsa_float_denorm_mode_32 3
		.amdhsa_float_denorm_mode_16_64 3
		.amdhsa_dx10_clamp 1
		.amdhsa_ieee_mode 1
		.amdhsa_fp16_overflow 0
		.amdhsa_exception_fp_ieee_invalid_op 0
		.amdhsa_exception_fp_denorm_src 0
		.amdhsa_exception_fp_ieee_div_zero 0
		.amdhsa_exception_fp_ieee_overflow 0
		.amdhsa_exception_fp_ieee_underflow 0
		.amdhsa_exception_fp_ieee_inexact 0
		.amdhsa_exception_int_div_zero 0
	.end_amdhsa_kernel
	.text
.Lfunc_end0:
	.size	bluestein_single_fwd_len2250_dim1_sp_op_CI_CI, .Lfunc_end0-bluestein_single_fwd_len2250_dim1_sp_op_CI_CI
                                        ; -- End function
	.section	.AMDGPU.csdata,"",@progbits
; Kernel info:
; codeLenInByte = 31144
; NumSgprs: 28
; NumVgprs: 256
; ScratchSize: 232
; MemoryBound: 0
; FloatMode: 240
; IeeeMode: 1
; LDSByteSize: 18000 bytes/workgroup (compile time only)
; SGPRBlocks: 3
; VGPRBlocks: 63
; NumSGPRsForWavesPerEU: 28
; NumVGPRsForWavesPerEU: 256
; Occupancy: 1
; WaveLimiterHint : 1
; COMPUTE_PGM_RSRC2:SCRATCH_EN: 1
; COMPUTE_PGM_RSRC2:USER_SGPR: 6
; COMPUTE_PGM_RSRC2:TRAP_HANDLER: 0
; COMPUTE_PGM_RSRC2:TGID_X_EN: 1
; COMPUTE_PGM_RSRC2:TGID_Y_EN: 0
; COMPUTE_PGM_RSRC2:TGID_Z_EN: 0
; COMPUTE_PGM_RSRC2:TIDIG_COMP_CNT: 0
	.type	__hip_cuid_94069f6bf72d6e70,@object ; @__hip_cuid_94069f6bf72d6e70
	.section	.bss,"aw",@nobits
	.globl	__hip_cuid_94069f6bf72d6e70
__hip_cuid_94069f6bf72d6e70:
	.byte	0                               ; 0x0
	.size	__hip_cuid_94069f6bf72d6e70, 1

	.ident	"AMD clang version 19.0.0git (https://github.com/RadeonOpenCompute/llvm-project roc-6.4.0 25133 c7fe45cf4b819c5991fe208aaa96edf142730f1d)"
	.section	".note.GNU-stack","",@progbits
	.addrsig
	.addrsig_sym __hip_cuid_94069f6bf72d6e70
	.amdgpu_metadata
---
amdhsa.kernels:
  - .args:
      - .actual_access:  read_only
        .address_space:  global
        .offset:         0
        .size:           8
        .value_kind:     global_buffer
      - .actual_access:  read_only
        .address_space:  global
        .offset:         8
        .size:           8
        .value_kind:     global_buffer
      - .actual_access:  read_only
        .address_space:  global
        .offset:         16
        .size:           8
        .value_kind:     global_buffer
      - .actual_access:  read_only
        .address_space:  global
        .offset:         24
        .size:           8
        .value_kind:     global_buffer
      - .actual_access:  read_only
        .address_space:  global
        .offset:         32
        .size:           8
        .value_kind:     global_buffer
      - .offset:         40
        .size:           8
        .value_kind:     by_value
      - .address_space:  global
        .offset:         48
        .size:           8
        .value_kind:     global_buffer
      - .address_space:  global
        .offset:         56
        .size:           8
        .value_kind:     global_buffer
      - .address_space:  global
        .offset:         64
        .size:           8
        .value_kind:     global_buffer
      - .address_space:  global
        .offset:         72
        .size:           8
        .value_kind:     global_buffer
      - .offset:         80
        .size:           4
        .value_kind:     by_value
      - .address_space:  global
        .offset:         88
        .size:           8
        .value_kind:     global_buffer
      - .address_space:  global
        .offset:         96
        .size:           8
        .value_kind:     global_buffer
    .group_segment_fixed_size: 18000
    .kernarg_segment_align: 8
    .kernarg_segment_size: 104
    .language:       OpenCL C
    .language_version:
      - 2
      - 0
    .max_flat_workgroup_size: 90
    .name:           bluestein_single_fwd_len2250_dim1_sp_op_CI_CI
    .private_segment_fixed_size: 232
    .sgpr_count:     28
    .sgpr_spill_count: 0
    .symbol:         bluestein_single_fwd_len2250_dim1_sp_op_CI_CI.kd
    .uniform_work_group_size: 1
    .uses_dynamic_stack: false
    .vgpr_count:     256
    .vgpr_spill_count: 57
    .wavefront_size: 64
amdhsa.target:   amdgcn-amd-amdhsa--gfx906
amdhsa.version:
  - 1
  - 2
...

	.end_amdgpu_metadata
